;; amdgpu-corpus repo=ROCm/rocFFT kind=compiled arch=gfx906 opt=O3
	.text
	.amdgcn_target "amdgcn-amd-amdhsa--gfx906"
	.amdhsa_code_object_version 6
	.protected	fft_rtc_fwd_len1375_factors_11_5_5_5_wgs_55_tpt_55_halfLds_sp_op_CI_CI_sbrr_dirReg ; -- Begin function fft_rtc_fwd_len1375_factors_11_5_5_5_wgs_55_tpt_55_halfLds_sp_op_CI_CI_sbrr_dirReg
	.globl	fft_rtc_fwd_len1375_factors_11_5_5_5_wgs_55_tpt_55_halfLds_sp_op_CI_CI_sbrr_dirReg
	.p2align	8
	.type	fft_rtc_fwd_len1375_factors_11_5_5_5_wgs_55_tpt_55_halfLds_sp_op_CI_CI_sbrr_dirReg,@function
fft_rtc_fwd_len1375_factors_11_5_5_5_wgs_55_tpt_55_halfLds_sp_op_CI_CI_sbrr_dirReg: ; @fft_rtc_fwd_len1375_factors_11_5_5_5_wgs_55_tpt_55_halfLds_sp_op_CI_CI_sbrr_dirReg
; %bb.0:
	s_load_dwordx4 s[16:19], s[4:5], 0x18
	s_load_dwordx4 s[12:15], s[4:5], 0x0
	;; [unrolled: 1-line block ×3, first 2 shown]
	v_mul_u32_u24_e32 v1, 0x4a8, v0
	v_mov_b32_e32 v5, 0
	s_waitcnt lgkmcnt(0)
	s_load_dwordx2 s[20:21], s[16:17], 0x0
	s_load_dwordx2 s[2:3], s[18:19], 0x0
	v_cmp_lt_u64_e64 s[0:1], s[14:15], 2
	v_mov_b32_e32 v71, 0
	v_add_u32_sdwa v7, s6, v1 dst_sel:DWORD dst_unused:UNUSED_PAD src0_sel:DWORD src1_sel:WORD_1
	v_mov_b32_e32 v8, v5
	s_and_b64 vcc, exec, s[0:1]
	v_mov_b32_e32 v72, 0
	s_cbranch_vccnz .LBB0_8
; %bb.1:
	s_load_dwordx2 s[0:1], s[4:5], 0x10
	s_add_u32 s6, s18, 8
	s_addc_u32 s7, s19, 0
	s_add_u32 s22, s16, 8
	s_addc_u32 s23, s17, 0
	v_mov_b32_e32 v71, 0
	s_waitcnt lgkmcnt(0)
	s_add_u32 s24, s0, 8
	v_mov_b32_e32 v72, 0
	v_mov_b32_e32 v1, v71
	s_addc_u32 s25, s1, 0
	s_mov_b64 s[26:27], 1
	v_mov_b32_e32 v2, v72
.LBB0_2:                                ; =>This Inner Loop Header: Depth=1
	s_load_dwordx2 s[28:29], s[24:25], 0x0
                                        ; implicit-def: $vgpr3_vgpr4
	s_waitcnt lgkmcnt(0)
	v_or_b32_e32 v6, s29, v8
	v_cmp_ne_u64_e32 vcc, 0, v[5:6]
	s_and_saveexec_b64 s[0:1], vcc
	s_xor_b64 s[30:31], exec, s[0:1]
	s_cbranch_execz .LBB0_4
; %bb.3:                                ;   in Loop: Header=BB0_2 Depth=1
	v_cvt_f32_u32_e32 v3, s28
	v_cvt_f32_u32_e32 v4, s29
	s_sub_u32 s0, 0, s28
	s_subb_u32 s1, 0, s29
	v_mac_f32_e32 v3, 0x4f800000, v4
	v_rcp_f32_e32 v3, v3
	v_mul_f32_e32 v3, 0x5f7ffffc, v3
	v_mul_f32_e32 v4, 0x2f800000, v3
	v_trunc_f32_e32 v4, v4
	v_mac_f32_e32 v3, 0xcf800000, v4
	v_cvt_u32_f32_e32 v4, v4
	v_cvt_u32_f32_e32 v3, v3
	v_mul_lo_u32 v6, s0, v4
	v_mul_hi_u32 v9, s0, v3
	v_mul_lo_u32 v11, s1, v3
	v_mul_lo_u32 v10, s0, v3
	v_add_u32_e32 v6, v9, v6
	v_add_u32_e32 v6, v6, v11
	v_mul_hi_u32 v9, v3, v10
	v_mul_lo_u32 v11, v3, v6
	v_mul_hi_u32 v13, v3, v6
	v_mul_hi_u32 v12, v4, v10
	v_mul_lo_u32 v10, v4, v10
	v_mul_hi_u32 v14, v4, v6
	v_add_co_u32_e32 v9, vcc, v9, v11
	v_addc_co_u32_e32 v11, vcc, 0, v13, vcc
	v_mul_lo_u32 v6, v4, v6
	v_add_co_u32_e32 v9, vcc, v9, v10
	v_addc_co_u32_e32 v9, vcc, v11, v12, vcc
	v_addc_co_u32_e32 v10, vcc, 0, v14, vcc
	v_add_co_u32_e32 v6, vcc, v9, v6
	v_addc_co_u32_e32 v9, vcc, 0, v10, vcc
	v_add_co_u32_e32 v3, vcc, v3, v6
	v_addc_co_u32_e32 v4, vcc, v4, v9, vcc
	v_mul_lo_u32 v6, s0, v4
	v_mul_hi_u32 v9, s0, v3
	v_mul_lo_u32 v10, s1, v3
	v_mul_lo_u32 v11, s0, v3
	v_add_u32_e32 v6, v9, v6
	v_add_u32_e32 v6, v6, v10
	v_mul_lo_u32 v12, v3, v6
	v_mul_hi_u32 v13, v3, v11
	v_mul_hi_u32 v14, v3, v6
	;; [unrolled: 1-line block ×3, first 2 shown]
	v_mul_lo_u32 v11, v4, v11
	v_mul_hi_u32 v9, v4, v6
	v_add_co_u32_e32 v12, vcc, v13, v12
	v_addc_co_u32_e32 v13, vcc, 0, v14, vcc
	v_mul_lo_u32 v6, v4, v6
	v_add_co_u32_e32 v11, vcc, v12, v11
	v_addc_co_u32_e32 v10, vcc, v13, v10, vcc
	v_addc_co_u32_e32 v9, vcc, 0, v9, vcc
	v_add_co_u32_e32 v6, vcc, v10, v6
	v_addc_co_u32_e32 v9, vcc, 0, v9, vcc
	v_add_co_u32_e32 v6, vcc, v3, v6
	v_addc_co_u32_e32 v9, vcc, v4, v9, vcc
	v_mad_u64_u32 v[3:4], s[0:1], v7, v9, 0
	v_mul_hi_u32 v10, v7, v6
	v_add_co_u32_e32 v11, vcc, v10, v3
	v_addc_co_u32_e32 v12, vcc, 0, v4, vcc
	v_mad_u64_u32 v[3:4], s[0:1], v8, v6, 0
	v_mad_u64_u32 v[9:10], s[0:1], v8, v9, 0
	v_add_co_u32_e32 v3, vcc, v11, v3
	v_addc_co_u32_e32 v3, vcc, v12, v4, vcc
	v_addc_co_u32_e32 v4, vcc, 0, v10, vcc
	v_add_co_u32_e32 v6, vcc, v3, v9
	v_addc_co_u32_e32 v9, vcc, 0, v4, vcc
	v_mul_lo_u32 v10, s29, v6
	v_mul_lo_u32 v11, s28, v9
	v_mad_u64_u32 v[3:4], s[0:1], s28, v6, 0
	v_add3_u32 v4, v4, v11, v10
	v_sub_u32_e32 v10, v8, v4
	v_mov_b32_e32 v11, s29
	v_sub_co_u32_e32 v3, vcc, v7, v3
	v_subb_co_u32_e64 v10, s[0:1], v10, v11, vcc
	v_subrev_co_u32_e64 v11, s[0:1], s28, v3
	v_subbrev_co_u32_e64 v10, s[0:1], 0, v10, s[0:1]
	v_cmp_le_u32_e64 s[0:1], s29, v10
	v_cndmask_b32_e64 v12, 0, -1, s[0:1]
	v_cmp_le_u32_e64 s[0:1], s28, v11
	v_cndmask_b32_e64 v11, 0, -1, s[0:1]
	v_cmp_eq_u32_e64 s[0:1], s29, v10
	v_cndmask_b32_e64 v10, v12, v11, s[0:1]
	v_add_co_u32_e64 v11, s[0:1], 2, v6
	v_addc_co_u32_e64 v12, s[0:1], 0, v9, s[0:1]
	v_add_co_u32_e64 v13, s[0:1], 1, v6
	v_addc_co_u32_e64 v14, s[0:1], 0, v9, s[0:1]
	v_subb_co_u32_e32 v4, vcc, v8, v4, vcc
	v_cmp_ne_u32_e64 s[0:1], 0, v10
	v_cmp_le_u32_e32 vcc, s29, v4
	v_cndmask_b32_e64 v10, v14, v12, s[0:1]
	v_cndmask_b32_e64 v12, 0, -1, vcc
	v_cmp_le_u32_e32 vcc, s28, v3
	v_cndmask_b32_e64 v3, 0, -1, vcc
	v_cmp_eq_u32_e32 vcc, s29, v4
	v_cndmask_b32_e32 v3, v12, v3, vcc
	v_cmp_ne_u32_e32 vcc, 0, v3
	v_cndmask_b32_e64 v3, v13, v11, s[0:1]
	v_cndmask_b32_e32 v4, v9, v10, vcc
	v_cndmask_b32_e32 v3, v6, v3, vcc
.LBB0_4:                                ;   in Loop: Header=BB0_2 Depth=1
	s_andn2_saveexec_b64 s[0:1], s[30:31]
	s_cbranch_execz .LBB0_6
; %bb.5:                                ;   in Loop: Header=BB0_2 Depth=1
	v_cvt_f32_u32_e32 v3, s28
	s_sub_i32 s30, 0, s28
	v_rcp_iflag_f32_e32 v3, v3
	v_mul_f32_e32 v3, 0x4f7ffffe, v3
	v_cvt_u32_f32_e32 v3, v3
	v_mul_lo_u32 v4, s30, v3
	v_mul_hi_u32 v4, v3, v4
	v_add_u32_e32 v3, v3, v4
	v_mul_hi_u32 v3, v7, v3
	v_mul_lo_u32 v4, v3, s28
	v_add_u32_e32 v6, 1, v3
	v_sub_u32_e32 v4, v7, v4
	v_subrev_u32_e32 v9, s28, v4
	v_cmp_le_u32_e32 vcc, s28, v4
	v_cndmask_b32_e32 v4, v4, v9, vcc
	v_cndmask_b32_e32 v3, v3, v6, vcc
	v_add_u32_e32 v6, 1, v3
	v_cmp_le_u32_e32 vcc, s28, v4
	v_cndmask_b32_e32 v3, v3, v6, vcc
	v_mov_b32_e32 v4, v5
.LBB0_6:                                ;   in Loop: Header=BB0_2 Depth=1
	s_or_b64 exec, exec, s[0:1]
	v_mul_lo_u32 v6, v4, s28
	v_mul_lo_u32 v11, v3, s29
	v_mad_u64_u32 v[9:10], s[0:1], v3, s28, 0
	s_load_dwordx2 s[0:1], s[22:23], 0x0
	s_load_dwordx2 s[28:29], s[6:7], 0x0
	v_add3_u32 v6, v10, v11, v6
	v_sub_co_u32_e32 v7, vcc, v7, v9
	v_subb_co_u32_e32 v6, vcc, v8, v6, vcc
	s_waitcnt lgkmcnt(0)
	v_mul_lo_u32 v8, s0, v6
	v_mul_lo_u32 v9, s1, v7
	v_mad_u64_u32 v[71:72], s[0:1], s0, v7, v[71:72]
	v_mul_lo_u32 v6, s28, v6
	v_mul_lo_u32 v10, s29, v7
	v_mad_u64_u32 v[1:2], s[0:1], s28, v7, v[1:2]
	s_add_u32 s26, s26, 1
	s_addc_u32 s27, s27, 0
	s_add_u32 s6, s6, 8
	v_add3_u32 v2, v10, v2, v6
	s_addc_u32 s7, s7, 0
	v_mov_b32_e32 v6, s14
	s_add_u32 s22, s22, 8
	v_mov_b32_e32 v7, s15
	s_addc_u32 s23, s23, 0
	v_cmp_ge_u64_e32 vcc, s[26:27], v[6:7]
	s_add_u32 s24, s24, 8
	v_add3_u32 v72, v9, v72, v8
	s_addc_u32 s25, s25, 0
	s_cbranch_vccnz .LBB0_9
; %bb.7:                                ;   in Loop: Header=BB0_2 Depth=1
	v_mov_b32_e32 v8, v4
	v_mov_b32_e32 v7, v3
	s_branch .LBB0_2
.LBB0_8:
	v_mov_b32_e32 v1, v71
	v_mov_b32_e32 v3, v7
	;; [unrolled: 1-line block ×4, first 2 shown]
.LBB0_9:
	s_load_dwordx2 s[0:1], s[4:5], 0x28
	s_lshl_b64 s[14:15], s[14:15], 3
	s_add_u32 s4, s18, s14
	s_addc_u32 s5, s19, s15
                                        ; implicit-def: $sgpr18
                                        ; implicit-def: $vgpr73
                                        ; implicit-def: $vgpr74
	s_waitcnt lgkmcnt(0)
	v_cmp_gt_u64_e32 vcc, s[0:1], v[3:4]
	v_cmp_le_u64_e64 s[0:1], s[0:1], v[3:4]
	s_and_saveexec_b64 s[6:7], s[0:1]
	s_xor_b64 s[0:1], exec, s[6:7]
; %bb.10:
	s_mov_b32 s6, 0x4a7904b
	v_mul_hi_u32 v5, v0, s6
	s_mov_b32 s18, 0
                                        ; implicit-def: $vgpr71_vgpr72
	v_mul_u32_u24_e32 v5, 55, v5
	v_sub_u32_e32 v73, v0, v5
	v_add_u32_e32 v74, 55, v73
                                        ; implicit-def: $vgpr0
; %bb.11:
	s_or_saveexec_b64 s[6:7], s[0:1]
	s_load_dwordx2 s[4:5], s[4:5], 0x0
	v_mov_b32_e32 v6, s18
	v_mov_b32_e32 v5, s18
                                        ; implicit-def: $vgpr56
                                        ; implicit-def: $vgpr64
                                        ; implicit-def: $vgpr60
                                        ; implicit-def: $vgpr50
                                        ; implicit-def: $vgpr44
                                        ; implicit-def: $vgpr40
                                        ; implicit-def: $vgpr20
                                        ; implicit-def: $vgpr36
                                        ; implicit-def: $vgpr22
                                        ; implicit-def: $vgpr30
                                        ; implicit-def: $vgpr28
                                        ; implicit-def: $vgpr14
                                        ; implicit-def: $vgpr34
                                        ; implicit-def: $vgpr16
                                        ; implicit-def: $vgpr8
                                        ; implicit-def: $vgpr24
                                        ; implicit-def: $vgpr10
                                        ; implicit-def: $vgpr58
                                        ; implicit-def: $vgpr48
                                        ; implicit-def: $vgpr42
                                        ; implicit-def: $vgpr26
                                        ; implicit-def: $vgpr12
                                        ; implicit-def: $vgpr52
                                        ; implicit-def: $vgpr46
                                        ; implicit-def: $vgpr38
                                        ; implicit-def: $vgpr32
                                        ; implicit-def: $vgpr18
                                        ; implicit-def: $vgpr70
                                        ; implicit-def: $vgpr68
                                        ; implicit-def: $vgpr66
                                        ; implicit-def: $vgpr62
                                        ; implicit-def: $vgpr54
	s_xor_b64 exec, exec, s[6:7]
	s_cbranch_execz .LBB0_15
; %bb.12:
	s_add_u32 s0, s16, s14
	s_mov_b32 s14, 0x4a7904b
	v_mul_hi_u32 v5, v0, s14
	s_addc_u32 s1, s17, s15
	s_load_dwordx2 s[0:1], s[0:1], 0x0
                                        ; implicit-def: $vgpr41
	v_mul_u32_u24_e32 v5, 55, v5
	v_sub_u32_e32 v73, v0, v5
	v_mad_u64_u32 v[5:6], s[14:15], s20, v73, 0
	s_waitcnt lgkmcnt(0)
	v_mul_lo_u32 v11, s1, v3
	v_mul_lo_u32 v12, s0, v4
	v_mad_u64_u32 v[7:8], s[0:1], s0, v3, 0
	v_mov_b32_e32 v0, v6
	v_mad_u64_u32 v[9:10], s[0:1], s21, v73, v[0:1]
	v_add3_u32 v8, v8, v12, v11
	v_lshlrev_b64 v[7:8], 3, v[7:8]
	v_mov_b32_e32 v0, s9
	v_add_co_u32_e64 v11, s[0:1], s8, v7
	v_add_u32_e32 v13, 0x7d, v73
	v_mov_b32_e32 v6, v9
	v_addc_co_u32_e64 v12, s[0:1], v0, v8, s[0:1]
	v_mad_u64_u32 v[9:10], s[0:1], s20, v13, 0
	v_lshlrev_b64 v[7:8], 3, v[71:72]
	v_lshlrev_b64 v[5:6], 3, v[5:6]
	v_add_co_u32_e64 v0, s[0:1], v11, v7
	v_mov_b32_e32 v7, v10
	v_addc_co_u32_e64 v42, s[0:1], v12, v8, s[0:1]
	v_mad_u64_u32 v[7:8], s[0:1], s21, v13, v[7:8]
	v_add_u32_e32 v13, 0xfa, v73
	v_mad_u64_u32 v[11:12], s[0:1], s20, v13, 0
	v_mov_b32_e32 v10, v7
	v_add_co_u32_e64 v5, s[0:1], v0, v5
	v_lshlrev_b64 v[7:8], 3, v[9:10]
	v_mov_b32_e32 v9, v12
	v_addc_co_u32_e64 v6, s[0:1], v42, v6, s[0:1]
	v_mad_u64_u32 v[9:10], s[0:1], s21, v13, v[9:10]
	v_add_u32_e32 v15, 0x177, v73
	v_mad_u64_u32 v[13:14], s[0:1], s20, v15, 0
	v_mov_b32_e32 v12, v9
	v_add_co_u32_e64 v7, s[0:1], v0, v7
	v_lshlrev_b64 v[9:10], 3, v[11:12]
	;; [unrolled: 8-line block ×7, first 2 shown]
	v_mov_b32_e32 v21, v24
	v_addc_co_u32_e64 v18, s[0:1], v42, v18, s[0:1]
	v_mad_u64_u32 v[21:22], s[0:1], s21, v25, v[21:22]
	v_add_u32_e32 v22, 0x465, v73
	v_mad_u64_u32 v[25:26], s[0:1], s20, v22, 0
	v_add_co_u32_e64 v27, s[0:1], v0, v19
	v_mov_b32_e32 v24, v21
	v_mov_b32_e32 v21, v26
	v_addc_co_u32_e64 v28, s[0:1], v42, v20, s[0:1]
	v_lshlrev_b64 v[19:20], 3, v[23:24]
	v_mad_u64_u32 v[21:22], s[0:1], s21, v22, v[21:22]
	v_add_u32_e32 v24, 0x4e2, v73
	v_mad_u64_u32 v[22:23], s[0:1], s20, v24, 0
	v_add_co_u32_e64 v31, s[0:1], v0, v19
	v_mov_b32_e32 v26, v21
	v_mov_b32_e32 v21, v23
	v_addc_co_u32_e64 v32, s[0:1], v42, v20, s[0:1]
	v_mad_u64_u32 v[23:24], s[0:1], s21, v24, v[21:22]
	v_add_u32_e32 v74, 55, v73
	v_lshlrev_b64 v[19:20], 3, v[25:26]
	v_mad_u64_u32 v[24:25], s[0:1], s20, v74, 0
	v_add_co_u32_e64 v33, s[0:1], v0, v19
	v_mov_b32_e32 v21, v25
	v_addc_co_u32_e64 v34, s[0:1], v42, v20, s[0:1]
	v_lshlrev_b64 v[19:20], 3, v[22:23]
	v_mad_u64_u32 v[21:22], s[0:1], s21, v74, v[21:22]
	v_add_u32_e32 v26, 0xb4, v73
	v_mad_u64_u32 v[22:23], s[0:1], s20, v26, 0
	v_add_co_u32_e64 v37, s[0:1], v0, v19
	v_mov_b32_e32 v25, v21
	v_mov_b32_e32 v21, v23
	v_addc_co_u32_e64 v38, s[0:1], v42, v20, s[0:1]
	v_lshlrev_b64 v[19:20], 3, v[24:25]
	v_mad_u64_u32 v[23:24], s[0:1], s21, v26, v[21:22]
	v_add_u32_e32 v26, 0x131, v73
	v_mad_u64_u32 v[24:25], s[0:1], s20, v26, 0
	v_add_co_u32_e64 v45, s[0:1], v0, v19
	v_mov_b32_e32 v21, v25
	v_addc_co_u32_e64 v46, s[0:1], v42, v20, s[0:1]
	v_lshlrev_b64 v[19:20], 3, v[22:23]
	v_mad_u64_u32 v[21:22], s[0:1], s21, v26, v[21:22]
	v_add_u32_e32 v26, 0x1ae, v73
	v_mad_u64_u32 v[22:23], s[0:1], s20, v26, 0
	v_add_co_u32_e64 v47, s[0:1], v0, v19
	v_mov_b32_e32 v25, v21
	v_mov_b32_e32 v21, v23
	v_addc_co_u32_e64 v48, s[0:1], v42, v20, s[0:1]
	v_lshlrev_b64 v[19:20], 3, v[24:25]
	v_mad_u64_u32 v[23:24], s[0:1], s21, v26, v[21:22]
	v_add_u32_e32 v26, 0x22b, v73
	;; [unrolled: 15-line block ×5, first 2 shown]
	v_mad_u64_u32 v[24:25], s[0:1], s20, v26, 0
	v_add_co_u32_e64 v81, s[0:1], v0, v19
	v_mov_b32_e32 v21, v25
	v_addc_co_u32_e64 v82, s[0:1], v42, v20, s[0:1]
	v_lshlrev_b64 v[19:20], 3, v[22:23]
	v_mad_u64_u32 v[21:22], s[0:1], s21, v26, v[21:22]
	v_add_co_u32_e64 v83, s[0:1], v0, v19
	v_mov_b32_e32 v25, v21
	v_addc_co_u32_e64 v84, s[0:1], v42, v20, s[0:1]
	v_lshlrev_b64 v[19:20], 3, v[24:25]
                                        ; implicit-def: $vgpr25
	v_add_co_u32_e64 v23, s[0:1], v0, v19
	v_addc_co_u32_e64 v24, s[0:1], v42, v20, s[0:1]
	global_load_dwordx2 v[55:56], v[5:6], off
	global_load_dwordx2 v[63:64], v[7:8], off
	global_load_dwordx2 v[59:60], v[9:10], off
	global_load_dwordx2 v[49:50], v[11:12], off
	global_load_dwordx2 v[43:44], v[13:14], off
	global_load_dwordx2 v[39:40], v[15:16], off
	global_load_dwordx2 v[53:54], v[17:18], off
	global_load_dwordx2 v[61:62], v[27:28], off
	global_load_dwordx2 v[65:66], v[31:32], off
	global_load_dwordx2 v[67:68], v[33:34], off
	global_load_dwordx2 v[69:70], v[37:38], off
	global_load_dwordx2 v[19:20], v[45:46], off
	global_load_dwordx2 v[35:36], v[47:48], off
	global_load_dwordx2 v[21:22], v[51:52], off
	global_load_dwordx2 v[29:30], v[57:58], off
                                        ; kill: killed $vgpr27 killed $vgpr28
                                        ; kill: killed $vgpr9 killed $vgpr10
                                        ; kill: killed $vgpr47 killed $vgpr48
                                        ; kill: killed $vgpr33 killed $vgpr34
                                        ; kill: killed $vgpr13 killed $vgpr14
                                        ; kill: killed $vgpr57 killed $vgpr58
                                        ; kill: killed $vgpr17 killed $vgpr18
                                        ; kill: killed $vgpr7 killed $vgpr8
                                        ; kill: killed $vgpr45 killed $vgpr46
                                        ; kill: killed $vgpr31 killed $vgpr32
                                        ; kill: killed $vgpr11 killed $vgpr12
                                        ; kill: killed $vgpr51 killed $vgpr52
                                        ; kill: killed $vgpr37 killed $vgpr38
                                        ; kill: killed $vgpr15 killed $vgpr16
                                        ; kill: killed $vgpr5 killed $vgpr6
	global_load_dwordx2 v[27:28], v[71:72], off
	global_load_dwordx2 v[13:14], v[75:76], off
	;; [unrolled: 1-line block ×7, first 2 shown]
	v_cmp_gt_u32_e64 s[0:1], 15, v73
	v_mov_b32_e32 v5, 0
	v_mov_b32_e32 v6, 0
                                        ; implicit-def: $vgpr11
                                        ; implicit-def: $vgpr47
                                        ; implicit-def: $vgpr57
                                        ; implicit-def: $vgpr9
                                        ; implicit-def: $vgpr23
                                        ; implicit-def: $vgpr7
                                        ; implicit-def: $vgpr15
                                        ; implicit-def: $vgpr33
	s_and_saveexec_b64 s[8:9], s[0:1]
	s_cbranch_execz .LBB0_14
; %bb.13:
	v_add_u32_e32 v9, 0x6e, v73
	v_add_u32_e32 v11, 0xeb, v73
	v_mad_u64_u32 v[5:6], s[0:1], s20, v9, 0
	v_mad_u64_u32 v[7:8], s[0:1], s20, v11, 0
	v_add_u32_e32 v15, 0x168, v73
	v_add_u32_e32 v41, 0x2df, v73
	v_mad_u64_u32 v[9:10], s[0:1], s21, v9, v[6:7]
	v_add_u32_e32 v82, 0x4d3, v73
	v_mov_b32_e32 v6, v9
	v_mad_u64_u32 v[8:9], s[0:1], s21, v11, v[8:9]
	v_mad_u64_u32 v[9:10], s[0:1], s20, v15, 0
	v_lshlrev_b64 v[5:6], 3, v[5:6]
	v_add_co_u32_e64 v11, s[0:1], v0, v5
	v_addc_co_u32_e64 v12, s[0:1], v42, v6, s[0:1]
	v_lshlrev_b64 v[5:6], 3, v[7:8]
	v_mov_b32_e32 v7, v10
	v_mad_u64_u32 v[7:8], s[0:1], s21, v15, v[7:8]
	v_add_u32_e32 v8, 0x1e5, v73
	v_mad_u64_u32 v[15:16], s[0:1], s20, v8, 0
	v_add_co_u32_e64 v23, s[0:1], v0, v5
	v_mov_b32_e32 v10, v7
	v_mov_b32_e32 v7, v16
	v_addc_co_u32_e64 v24, s[0:1], v42, v6, s[0:1]
	v_mad_u64_u32 v[7:8], s[0:1], s21, v8, v[7:8]
	v_lshlrev_b64 v[5:6], 3, v[9:10]
	v_add_co_u32_e64 v9, s[0:1], v0, v5
	v_mov_b32_e32 v16, v7
	v_addc_co_u32_e64 v10, s[0:1], v42, v6, s[0:1]
	v_lshlrev_b64 v[5:6], 3, v[15:16]
	v_add_u32_e32 v7, 0x262, v73
	v_mad_u64_u32 v[25:26], s[0:1], s20, v7, 0
	v_add_co_u32_e64 v47, s[0:1], v0, v5
	v_addc_co_u32_e64 v48, s[0:1], v42, v6, s[0:1]
	v_mad_u64_u32 v[71:72], s[0:1], s20, v41, 0
	v_mov_b32_e32 v5, v26
	v_mad_u64_u32 v[57:58], s[0:1], s21, v7, v[5:6]
	global_load_dwordx2 v[5:6], v[11:12], off
	global_load_dwordx2 v[33:34], v[23:24], off
	;; [unrolled: 1-line block ×4, first 2 shown]
	v_mov_b32_e32 v11, v72
	v_mad_u64_u32 v[11:12], s[0:1], s21, v41, v[11:12]
	v_add_u32_e32 v12, 0x35c, v73
	v_mad_u64_u32 v[23:24], s[0:1], s20, v12, 0
	v_mov_b32_e32 v26, v57
	v_lshlrev_b64 v[9:10], 3, v[25:26]
	v_mov_b32_e32 v72, v11
	v_add_co_u32_e64 v47, s[0:1], v0, v9
	v_mov_b32_e32 v11, v24
	v_addc_co_u32_e64 v48, s[0:1], v42, v10, s[0:1]
	v_mad_u64_u32 v[11:12], s[0:1], s21, v12, v[11:12]
	v_add_u32_e32 v12, 0x3d9, v73
	v_mad_u64_u32 v[25:26], s[0:1], s20, v12, 0
	v_lshlrev_b64 v[9:10], 3, v[71:72]
	v_mov_b32_e32 v24, v11
	v_add_co_u32_e64 v57, s[0:1], v0, v9
	v_mov_b32_e32 v11, v26
	v_addc_co_u32_e64 v58, s[0:1], v42, v10, s[0:1]
	v_mad_u64_u32 v[11:12], s[0:1], s21, v12, v[11:12]
	v_lshlrev_b64 v[9:10], 3, v[23:24]
	v_add_co_u32_e64 v71, s[0:1], v0, v9
	v_mov_b32_e32 v26, v11
	v_add_u32_e32 v11, 0x456, v73
	v_addc_co_u32_e64 v72, s[0:1], v42, v10, s[0:1]
	v_mad_u64_u32 v[75:76], s[0:1], s20, v11, 0
	v_lshlrev_b64 v[9:10], 3, v[25:26]
	v_add_co_u32_e64 v77, s[0:1], v0, v9
	v_mov_b32_e32 v9, v76
	v_addc_co_u32_e64 v78, s[0:1], v42, v10, s[0:1]
	v_mad_u64_u32 v[79:80], s[0:1], s21, v11, v[9:10]
	v_mad_u64_u32 v[80:81], s[0:1], s20, v82, 0
	global_load_dwordx2 v[23:24], v[47:48], off
	global_load_dwordx2 v[9:10], v[57:58], off
	;; [unrolled: 1-line block ×4, first 2 shown]
	v_mov_b32_e32 v76, v79
	v_mov_b32_e32 v41, v81
	v_mad_u64_u32 v[57:58], s[0:1], s21, v82, v[41:42]
	v_or_b32_e32 v58, 0x550, v73
	v_mad_u64_u32 v[71:72], s[0:1], s20, v58, 0
	v_lshlrev_b64 v[47:48], 3, v[75:76]
	v_mov_b32_e32 v81, v57
	v_add_co_u32_e64 v75, s[0:1], v0, v47
	v_mov_b32_e32 v41, v72
	v_addc_co_u32_e64 v76, s[0:1], v42, v48, s[0:1]
	v_mad_u64_u32 v[57:58], s[0:1], s21, v58, v[41:42]
	v_lshlrev_b64 v[47:48], 3, v[80:81]
	v_add_co_u32_e64 v77, s[0:1], v0, v47
	v_mov_b32_e32 v72, v57
	v_addc_co_u32_e64 v78, s[0:1], v42, v48, s[0:1]
	v_lshlrev_b64 v[47:48], 3, v[71:72]
	v_add_co_u32_e64 v71, s[0:1], v0, v47
	v_addc_co_u32_e64 v72, s[0:1], v42, v48, s[0:1]
	global_load_dwordx2 v[41:42], v[75:76], off
	global_load_dwordx2 v[47:48], v[77:78], off
	;; [unrolled: 1-line block ×3, first 2 shown]
.LBB0_14:
	s_or_b64 exec, exec, s[8:9]
.LBB0_15:
	s_or_b64 exec, exec, s[6:7]
	s_waitcnt vmcnt(11)
	v_add_f32_e32 v71, v69, v63
	v_mul_f32_e32 v75, 0x3f575c64, v71
	v_mul_f32_e32 v77, 0x3ed4b147, v71
	;; [unrolled: 1-line block ×5, first 2 shown]
	v_sub_f32_e32 v72, v64, v70
	v_mov_b32_e32 v76, v75
	v_mov_b32_e32 v78, v77
	;; [unrolled: 1-line block ×5, first 2 shown]
	v_fmac_f32_e32 v76, 0x3f0a6770, v72
	v_fmac_f32_e32 v75, 0xbf0a6770, v72
	;; [unrolled: 1-line block ×10, first 2 shown]
	v_add_f32_e32 v0, v55, v63
	v_add_f32_e32 v76, v76, v55
	;; [unrolled: 1-line block ×12, first 2 shown]
	v_sub_f32_e32 v72, v60, v68
	v_mul_f32_e32 v84, 0x3ed4b147, v71
	v_mov_b32_e32 v85, v84
	v_fmac_f32_e32 v84, 0xbf68dda4, v72
	v_fmac_f32_e32 v85, 0x3f68dda4, v72
	v_add_f32_e32 v75, v75, v84
	v_mul_f32_e32 v84, 0xbf27a4f4, v71
	v_add_f32_e32 v76, v76, v85
	v_mov_b32_e32 v85, v84
	v_fmac_f32_e32 v84, 0xbf4178ce, v72
	v_fmac_f32_e32 v85, 0x3f4178ce, v72
	v_add_f32_e32 v77, v77, v84
	v_mul_f32_e32 v84, 0xbf75a155, v71
	v_add_f32_e32 v78, v78, v85
	v_mov_b32_e32 v85, v84
	v_fmac_f32_e32 v84, 0x3e903f40, v72
	v_fmac_f32_e32 v85, 0xbe903f40, v72
	v_add_f32_e32 v79, v79, v84
	v_mul_f32_e32 v84, 0xbe11bafb, v71
	v_add_f32_e32 v80, v80, v85
	v_mov_b32_e32 v85, v84
	v_fmac_f32_e32 v84, 0x3f7d64f0, v72
	v_mul_f32_e32 v71, 0x3f575c64, v71
	v_add_f32_e32 v81, v81, v84
	v_mov_b32_e32 v84, v71
	v_fmac_f32_e32 v71, 0x3f0a6770, v72
	v_fmac_f32_e32 v84, 0xbf0a6770, v72
	v_add_f32_e32 v55, v55, v71
	v_add_f32_e32 v71, v65, v49
	v_fmac_f32_e32 v85, 0xbf7d64f0, v72
	v_add_f32_e32 v83, v83, v84
	v_sub_f32_e32 v72, v50, v66
	v_mul_f32_e32 v84, 0xbe11bafb, v71
	v_add_f32_e32 v82, v82, v85
	v_mov_b32_e32 v85, v84
	v_fmac_f32_e32 v84, 0xbf7d64f0, v72
	v_fmac_f32_e32 v85, 0x3f7d64f0, v72
	v_add_f32_e32 v75, v75, v84
	v_mul_f32_e32 v84, 0xbf75a155, v71
	v_add_f32_e32 v76, v76, v85
	v_mov_b32_e32 v85, v84
	v_fmac_f32_e32 v84, 0x3e903f40, v72
	v_fmac_f32_e32 v85, 0xbe903f40, v72
	v_add_f32_e32 v77, v77, v84
	v_mul_f32_e32 v84, 0x3ed4b147, v71
	v_add_f32_e32 v78, v78, v85
	v_mov_b32_e32 v85, v84
	v_fmac_f32_e32 v84, 0x3f68dda4, v72
	v_fmac_f32_e32 v85, 0xbf68dda4, v72
	v_add_f32_e32 v79, v79, v84
	v_mul_f32_e32 v84, 0x3f575c64, v71
	v_add_f32_e32 v80, v80, v85
	v_mov_b32_e32 v85, v84
	v_fmac_f32_e32 v84, 0xbf0a6770, v72
	v_mul_f32_e32 v71, 0xbf27a4f4, v71
	v_add_f32_e32 v81, v81, v84
	v_mov_b32_e32 v84, v71
	v_fmac_f32_e32 v71, 0xbf4178ce, v72
	v_fmac_f32_e32 v84, 0x3f4178ce, v72
	v_add_f32_e32 v55, v55, v71
	v_add_f32_e32 v71, v61, v43
	v_fmac_f32_e32 v85, 0x3f0a6770, v72
	v_add_f32_e32 v83, v83, v84
	v_sub_f32_e32 v72, v44, v62
	v_mul_f32_e32 v84, 0xbf27a4f4, v71
	v_add_f32_e32 v82, v82, v85
	;; [unrolled: 32-line block ×3, first 2 shown]
	v_mov_b32_e32 v85, v84
	v_fmac_f32_e32 v84, 0xbe903f40, v72
	v_fmac_f32_e32 v85, 0x3e903f40, v72
	v_add_f32_e32 v75, v75, v84
	v_mul_f32_e32 v84, 0x3f575c64, v71
	v_add_f32_e32 v76, v76, v85
	v_mov_b32_e32 v85, v84
	v_fmac_f32_e32 v84, 0x3f0a6770, v72
	v_fmac_f32_e32 v85, 0xbf0a6770, v72
	v_add_f32_e32 v77, v77, v84
	v_mul_f32_e32 v84, 0xbf27a4f4, v71
	v_add_f32_e32 v78, v78, v85
	;; [unrolled: 6-line block ×3, first 2 shown]
	v_mov_b32_e32 v85, v84
	v_fmac_f32_e32 v84, 0x3f68dda4, v72
	v_mul_f32_e32 v71, 0xbe11bafb, v71
	v_add_f32_e32 v81, v81, v84
	v_mov_b32_e32 v84, v71
	v_fmac_f32_e32 v71, 0xbf7d64f0, v72
	v_add_f32_e32 v55, v55, v71
	s_waitcnt vmcnt(9)
	v_add_f32_e32 v71, v19, v35
	s_waitcnt vmcnt(8)
	;; [unrolled: 2-line block ×8, first 2 shown]
	v_add_f32_e32 v71, v37, v71
	v_fmac_f32_e32 v84, 0x3f7d64f0, v72
	s_waitcnt vmcnt(1)
	v_add_f32_e32 v71, v45, v71
	v_fmac_f32_e32 v85, 0xbf68dda4, v72
	v_add_f32_e32 v83, v83, v84
	s_waitcnt vmcnt(0)
	v_add_f32_e32 v84, v51, v71
	v_add_f32_e32 v71, v51, v35
	v_add_f32_e32 v82, v82, v85
	v_mul_f32_e32 v85, 0x3f575c64, v71
	v_mul_f32_e32 v87, 0x3ed4b147, v71
	;; [unrolled: 1-line block ×5, first 2 shown]
	v_sub_f32_e32 v72, v36, v52
	v_mov_b32_e32 v86, v85
	v_mov_b32_e32 v88, v87
	;; [unrolled: 1-line block ×5, first 2 shown]
	v_fmac_f32_e32 v86, 0x3f0a6770, v72
	v_fmac_f32_e32 v85, 0xbf0a6770, v72
	;; [unrolled: 1-line block ×10, first 2 shown]
	v_add_f32_e32 v86, v86, v19
	v_add_f32_e32 v85, v85, v19
	;; [unrolled: 1-line block ×11, first 2 shown]
	v_sub_f32_e32 v72, v22, v46
	v_mul_f32_e32 v94, 0x3ed4b147, v71
	v_mov_b32_e32 v95, v94
	v_fmac_f32_e32 v94, 0xbf68dda4, v72
	v_fmac_f32_e32 v95, 0x3f68dda4, v72
	v_add_f32_e32 v85, v85, v94
	v_mul_f32_e32 v94, 0xbf27a4f4, v71
	v_add_f32_e32 v86, v86, v95
	v_mov_b32_e32 v95, v94
	v_fmac_f32_e32 v94, 0xbf4178ce, v72
	v_fmac_f32_e32 v95, 0x3f4178ce, v72
	v_add_f32_e32 v87, v87, v94
	v_mul_f32_e32 v94, 0xbf75a155, v71
	v_add_f32_e32 v88, v88, v95
	v_mov_b32_e32 v95, v94
	v_fmac_f32_e32 v94, 0x3e903f40, v72
	v_fmac_f32_e32 v95, 0xbe903f40, v72
	v_add_f32_e32 v89, v89, v94
	v_mul_f32_e32 v94, 0xbe11bafb, v71
	v_add_f32_e32 v90, v90, v95
	v_mov_b32_e32 v95, v94
	v_fmac_f32_e32 v94, 0x3f7d64f0, v72
	v_mul_f32_e32 v71, 0x3f575c64, v71
	v_add_f32_e32 v91, v91, v94
	v_mov_b32_e32 v94, v71
	v_fmac_f32_e32 v71, 0x3f0a6770, v72
	v_fmac_f32_e32 v94, 0xbf0a6770, v72
	v_add_f32_e32 v19, v19, v71
	v_add_f32_e32 v71, v37, v29
	v_fmac_f32_e32 v95, 0xbf7d64f0, v72
	v_add_f32_e32 v93, v93, v94
	v_sub_f32_e32 v72, v30, v38
	v_mul_f32_e32 v94, 0xbe11bafb, v71
	v_add_f32_e32 v92, v92, v95
	v_mov_b32_e32 v95, v94
	v_fmac_f32_e32 v94, 0xbf7d64f0, v72
	v_fmac_f32_e32 v95, 0x3f7d64f0, v72
	v_add_f32_e32 v85, v85, v94
	v_mul_f32_e32 v94, 0xbf75a155, v71
	v_add_f32_e32 v86, v86, v95
	v_mov_b32_e32 v95, v94
	v_fmac_f32_e32 v94, 0x3e903f40, v72
	v_fmac_f32_e32 v95, 0xbe903f40, v72
	v_add_f32_e32 v87, v87, v94
	v_mul_f32_e32 v94, 0x3ed4b147, v71
	v_add_f32_e32 v88, v88, v95
	v_mov_b32_e32 v95, v94
	v_fmac_f32_e32 v94, 0x3f68dda4, v72
	v_fmac_f32_e32 v95, 0xbf68dda4, v72
	v_add_f32_e32 v89, v89, v94
	v_mul_f32_e32 v94, 0x3f575c64, v71
	v_add_f32_e32 v90, v90, v95
	v_mov_b32_e32 v95, v94
	v_fmac_f32_e32 v94, 0xbf0a6770, v72
	v_mul_f32_e32 v71, 0xbf27a4f4, v71
	v_add_f32_e32 v91, v91, v94
	v_mov_b32_e32 v94, v71
	v_fmac_f32_e32 v71, 0xbf4178ce, v72
	v_fmac_f32_e32 v94, 0x3f4178ce, v72
	v_add_f32_e32 v19, v19, v71
	v_add_f32_e32 v71, v31, v27
	v_fmac_f32_e32 v95, 0x3f0a6770, v72
	v_add_f32_e32 v93, v93, v94
	v_sub_f32_e32 v72, v28, v32
	v_mul_f32_e32 v94, 0xbf27a4f4, v71
	v_add_f32_e32 v92, v92, v95
	v_mov_b32_e32 v95, v94
	v_fmac_f32_e32 v94, 0xbf4178ce, v72
	v_fmac_f32_e32 v95, 0x3f4178ce, v72
	v_add_f32_e32 v85, v85, v94
	v_mul_f32_e32 v94, 0xbe11bafb, v71
	v_add_f32_e32 v86, v86, v95
	v_mov_b32_e32 v95, v94
	v_fmac_f32_e32 v94, 0x3f7d64f0, v72
	v_fmac_f32_e32 v95, 0xbf7d64f0, v72
	v_add_f32_e32 v87, v87, v94
	v_mul_f32_e32 v94, 0x3f575c64, v71
	v_add_f32_e32 v88, v88, v95
	v_mov_b32_e32 v95, v94
	v_fmac_f32_e32 v94, 0xbf0a6770, v72
	v_fmac_f32_e32 v95, 0x3f0a6770, v72
	v_add_f32_e32 v89, v89, v94
	v_mul_f32_e32 v94, 0xbf75a155, v71
	v_add_f32_e32 v90, v90, v95
	v_mov_b32_e32 v95, v94
	v_fmac_f32_e32 v94, 0xbe903f40, v72
	v_mul_f32_e32 v71, 0x3ed4b147, v71
	v_add_f32_e32 v91, v91, v94
	v_mov_b32_e32 v94, v71
	v_fmac_f32_e32 v71, 0x3f68dda4, v72
	v_fmac_f32_e32 v94, 0xbf68dda4, v72
	v_add_f32_e32 v19, v19, v71
	v_add_f32_e32 v71, v17, v13
	v_fmac_f32_e32 v95, 0x3e903f40, v72
	v_add_f32_e32 v93, v93, v94
	v_sub_f32_e32 v72, v14, v18
	v_mul_f32_e32 v94, 0xbf75a155, v71
	v_add_f32_e32 v0, v0, v59
	v_add_f32_e32 v92, v92, v95
	v_mov_b32_e32 v95, v94
	v_fmac_f32_e32 v94, 0xbe903f40, v72
	v_add_f32_e32 v0, v0, v49
	v_fmac_f32_e32 v95, 0x3e903f40, v72
	v_add_f32_e32 v85, v85, v94
	v_mul_f32_e32 v94, 0x3f575c64, v71
	v_add_f32_e32 v0, v0, v43
	v_add_f32_e32 v86, v86, v95
	v_mov_b32_e32 v95, v94
	v_fmac_f32_e32 v94, 0x3f0a6770, v72
	v_add_f32_e32 v0, v0, v39
	v_fmac_f32_e32 v95, 0xbf0a6770, v72
	v_add_f32_e32 v87, v87, v94
	v_mul_f32_e32 v94, 0xbf27a4f4, v71
	v_add_f32_e32 v0, v0, v53
	;; [unrolled: 8-line block ×3, first 2 shown]
	v_add_f32_e32 v90, v90, v95
	v_mov_b32_e32 v95, v94
	v_fmac_f32_e32 v94, 0x3f68dda4, v72
	v_mul_f32_e32 v71, 0xbe11bafb, v71
	v_add_f32_e32 v0, v67, v0
	v_add_f32_e32 v91, v91, v94
	v_mov_b32_e32 v94, v71
	v_fmac_f32_e32 v71, 0xbf7d64f0, v72
	v_add_f32_e32 v0, v69, v0
	s_mov_b32 s14, 0x3f575c64
	s_mov_b32 s8, 0x3ed4b147
	;; [unrolled: 1-line block ×5, first 2 shown]
	v_fmac_f32_e32 v95, 0xbf68dda4, v72
	v_fmac_f32_e32 v94, 0x3f7d64f0, v72
	v_add_f32_e32 v19, v19, v71
	v_mad_u32_u24 v72, v73, 44, 0
	v_mad_i32_i24 v71, v74, 44, 0
	v_cmp_gt_u32_e64 s[0:1], 15, v73
	v_add_f32_e32 v92, v92, v95
	v_add_f32_e32 v93, v93, v94
	ds_write2_b32 v72, v0, v76 offset1:1
	ds_write2_b32 v72, v78, v80 offset0:2 offset1:3
	ds_write2_b32 v72, v82, v83 offset0:4 offset1:5
	;; [unrolled: 1-line block ×4, first 2 shown]
	ds_write_b32 v72, v75 offset:40
	ds_write2_b32 v71, v84, v86 offset1:1
	ds_write2_b32 v71, v88, v90 offset0:2 offset1:3
	ds_write2_b32 v71, v92, v93 offset0:4 offset1:5
	;; [unrolled: 1-line block ×4, first 2 shown]
	ds_write_b32 v71, v85 offset:40
	s_and_saveexec_b64 s[6:7], s[0:1]
	s_cbranch_execz .LBB0_17
; %bb.16:
	v_sub_f32_e32 v19, v34, v58
	v_mul_f32_e32 v55, 0xbe903f40, v19
	v_sub_f32_e32 v77, v16, v48
	v_add_f32_e32 v0, v33, v57
	v_mov_b32_e32 v75, v55
	v_mul_f32_e32 v78, 0x3f0a6770, v77
	v_fmac_f32_e32 v75, 0xbf75a155, v0
	v_add_f32_e32 v76, v15, v47
	v_mov_b32_e32 v79, v78
	v_sub_f32_e32 v80, v8, v42
	v_add_f32_e32 v75, v5, v75
	v_fmac_f32_e32 v79, 0x3f575c64, v76
	v_mul_f32_e32 v81, 0xbf4178ce, v80
	v_add_f32_e32 v75, v75, v79
	v_add_f32_e32 v79, v7, v41
	v_mov_b32_e32 v82, v81
	v_sub_f32_e32 v83, v24, v26
	v_fma_f32 v55, v0, s16, -v55
	v_fmac_f32_e32 v82, 0xbf27a4f4, v79
	v_mul_f32_e32 v84, 0x3f68dda4, v83
	v_add_f32_e32 v55, v5, v55
	v_fma_f32 v78, v76, s14, -v78
	v_add_f32_e32 v75, v75, v82
	v_add_f32_e32 v82, v23, v25
	v_mov_b32_e32 v85, v84
	v_add_f32_e32 v55, v55, v78
	v_fma_f32 v78, v79, s15, -v81
	v_fmac_f32_e32 v85, 0x3ed4b147, v82
	v_sub_f32_e32 v86, v10, v12
	v_add_f32_e32 v55, v55, v78
	v_fma_f32 v78, v82, s8, -v84
	v_add_f32_e32 v75, v75, v85
	v_add_f32_e32 v85, v9, v11
	v_mul_f32_e32 v87, 0xbf7d64f0, v86
	v_add_f32_e32 v55, v55, v78
	v_mul_f32_e32 v78, 0xbf4178ce, v19
	v_fma_f32 v88, v85, s9, -v87
	v_fmac_f32_e32 v87, 0xbe11bafb, v85
	v_mov_b32_e32 v81, v78
	v_mul_f32_e32 v84, 0x3f7d64f0, v77
	v_add_f32_e32 v75, v75, v87
	v_fmac_f32_e32 v81, 0xbf27a4f4, v0
	v_mov_b32_e32 v87, v84
	v_add_f32_e32 v81, v5, v81
	v_fmac_f32_e32 v87, 0xbe11bafb, v76
	v_add_f32_e32 v81, v81, v87
	v_mul_f32_e32 v87, 0xbf0a6770, v80
	v_add_f32_e32 v55, v55, v88
	v_mov_b32_e32 v88, v87
	v_fmac_f32_e32 v88, 0x3f575c64, v79
	v_add_f32_e32 v81, v81, v88
	v_mul_f32_e32 v88, 0xbe903f40, v83
	v_fma_f32 v78, v0, s15, -v78
	v_fma_f32 v89, v82, s16, -v88
	v_fmac_f32_e32 v88, 0xbf75a155, v82
	v_add_f32_e32 v78, v5, v78
	v_fma_f32 v84, v76, s9, -v84
	v_add_f32_e32 v81, v81, v88
	v_mul_f32_e32 v88, 0x3f68dda4, v86
	v_add_f32_e32 v78, v78, v84
	v_fma_f32 v84, v79, s14, -v87
	v_fma_f32 v90, v85, s8, -v88
	v_fmac_f32_e32 v88, 0x3ed4b147, v85
	v_add_f32_e32 v78, v78, v84
	v_mul_f32_e32 v84, 0xbf7d64f0, v19
	v_add_f32_e32 v81, v81, v88
	v_mov_b32_e32 v87, v84
	v_mul_f32_e32 v88, 0x3e903f40, v77
	v_add_f32_e32 v78, v78, v89
	v_fmac_f32_e32 v87, 0xbe11bafb, v0
	v_mov_b32_e32 v89, v88
	v_add_f32_e32 v87, v5, v87
	v_fmac_f32_e32 v89, 0xbf75a155, v76
	v_add_f32_e32 v87, v87, v89
	v_mul_f32_e32 v89, 0x3f68dda4, v80
	v_add_f32_e32 v78, v78, v90
	v_mov_b32_e32 v90, v89
	v_fmac_f32_e32 v90, 0x3ed4b147, v79
	v_add_f32_e32 v87, v87, v90
	v_mul_f32_e32 v90, 0xbf0a6770, v83
	v_fma_f32 v84, v0, s9, -v84
	v_fma_f32 v91, v82, s14, -v90
	v_fmac_f32_e32 v90, 0x3f575c64, v82
	v_add_f32_e32 v84, v5, v84
	v_fma_f32 v88, v76, s16, -v88
	v_add_f32_e32 v87, v87, v90
	v_mul_f32_e32 v90, 0xbf4178ce, v86
	v_add_f32_e32 v84, v84, v88
	v_fma_f32 v88, v79, s8, -v89
	v_fma_f32 v92, v85, s15, -v90
	v_fmac_f32_e32 v90, 0xbf27a4f4, v85
	v_add_f32_e32 v84, v84, v88
	v_mul_f32_e32 v88, 0xbf68dda4, v19
	v_add_f32_e32 v87, v87, v90
	v_mov_b32_e32 v89, v88
	v_mul_f32_e32 v90, 0xbf4178ce, v77
	v_add_f32_e32 v84, v84, v91
	v_fmac_f32_e32 v89, 0x3ed4b147, v0
	v_mov_b32_e32 v91, v90
	v_add_f32_e32 v89, v5, v89
	v_fmac_f32_e32 v91, 0xbf27a4f4, v76
	v_fma_f32 v88, v0, s8, -v88
	v_add_f32_e32 v89, v89, v91
	v_mul_f32_e32 v91, 0x3e903f40, v80
	v_add_f32_e32 v88, v5, v88
	v_fma_f32 v90, v76, s15, -v90
	v_add_f32_e32 v88, v88, v90
	v_fma_f32 v90, v79, s16, -v91
	v_mul_f32_e32 v19, 0xbf0a6770, v19
	v_add_f32_e32 v88, v88, v90
	v_mov_b32_e32 v90, v19
	v_fmac_f32_e32 v90, 0x3f575c64, v0
	v_fma_f32 v0, v0, s14, -v19
	v_add_f32_e32 v90, v5, v90
	v_add_f32_e32 v0, v5, v0
	;; [unrolled: 1-line block ×6, first 2 shown]
	v_mov_b32_e32 v92, v91
	v_add_f32_e32 v5, v5, v23
	v_fmac_f32_e32 v92, 0xbf75a155, v79
	v_mul_f32_e32 v77, 0xbf68dda4, v77
	v_add_f32_e32 v5, v5, v9
	v_add_f32_e32 v89, v89, v92
	v_mul_f32_e32 v92, 0x3f7d64f0, v83
	v_mul_f32_e32 v80, 0xbf7d64f0, v80
	v_fma_f32 v19, v76, s8, -v77
	v_add_f32_e32 v5, v5, v11
	v_fma_f32 v93, v82, s9, -v92
	v_fmac_f32_e32 v92, 0xbe11bafb, v82
	v_mov_b32_e32 v91, v77
	v_mul_f32_e32 v83, 0xbf4178ce, v83
	v_add_f32_e32 v0, v0, v19
	v_fma_f32 v19, v79, s9, -v80
	v_add_f32_e32 v5, v25, v5
	v_add_f32_e32 v89, v89, v92
	v_mul_f32_e32 v92, 0x3f0a6770, v86
	v_fmac_f32_e32 v91, 0x3ed4b147, v76
	v_mul_f32_e32 v86, 0xbe903f40, v86
	v_add_f32_e32 v0, v0, v19
	v_fma_f32 v19, v82, s15, -v83
	v_add_f32_e32 v5, v41, v5
	v_add_f32_e32 v90, v90, v91
	v_mov_b32_e32 v91, v80
	v_add_f32_e32 v0, v0, v19
	v_fma_f32 v19, v85, s16, -v86
	v_add_f32_e32 v5, v47, v5
	v_fma_f32 v94, v85, s14, -v92
	v_add_f32_e32 v88, v88, v93
	v_fmac_f32_e32 v91, 0xbe11bafb, v79
	v_add_f32_e32 v0, v0, v19
	v_add_f32_e32 v5, v57, v5
	v_add_u32_e32 v19, 0x12e8, v72
	v_add_f32_e32 v88, v88, v94
	v_add_f32_e32 v90, v90, v91
	v_mov_b32_e32 v91, v83
	ds_write2_b32 v19, v5, v0 offset1:1
	v_add_u32_e32 v0, 0x12f0, v72
	v_fmac_f32_e32 v91, 0xbf27a4f4, v82
	ds_write2_b32 v0, v88, v84 offset1:1
	v_add_u32_e32 v0, 0x12f8, v72
	v_fmac_f32_e32 v92, 0x3f575c64, v85
	v_add_f32_e32 v90, v90, v91
	v_mov_b32_e32 v91, v86
	ds_write2_b32 v0, v78, v55 offset1:1
	v_add_u32_e32 v0, 0x1300, v72
	v_add_f32_e32 v89, v89, v92
	v_fmac_f32_e32 v91, 0xbf75a155, v85
	ds_write2_b32 v0, v75, v81 offset1:1
	v_add_u32_e32 v0, 0x1308, v72
	v_add_f32_e32 v90, v90, v91
	ds_write2_b32 v0, v87, v89 offset1:1
	ds_write_b32 v72, v90 offset:4880
.LBB0_17:
	s_or_b64 exec, exec, s[6:7]
	v_add_f32_e32 v0, v56, v64
	v_add_f32_e32 v0, v0, v60
	;; [unrolled: 1-line block ×9, first 2 shown]
	v_sub_f32_e32 v19, v63, v69
	v_add_f32_e32 v5, v70, v0
	v_add_f32_e32 v0, v70, v64
	v_mul_f32_e32 v55, 0xbf0a6770, v19
	v_mul_f32_e32 v64, 0xbf68dda4, v19
	;; [unrolled: 1-line block ×5, first 2 shown]
	v_mov_b32_e32 v63, v55
	v_mov_b32_e32 v69, v64
	;; [unrolled: 1-line block ×5, first 2 shown]
	v_fmac_f32_e32 v63, 0x3f575c64, v0
	v_fma_f32 v55, v0, s14, -v55
	v_fmac_f32_e32 v69, 0x3ed4b147, v0
	v_fma_f32 v64, v0, s8, -v64
	;; [unrolled: 2-line block ×5, first 2 shown]
	v_add_f32_e32 v63, v63, v56
	v_add_f32_e32 v55, v55, v56
	;; [unrolled: 1-line block ×10, first 2 shown]
	v_sub_f32_e32 v56, v59, v67
	v_add_f32_e32 v19, v68, v60
	v_mul_f32_e32 v59, 0xbf68dda4, v56
	v_mov_b32_e32 v60, v59
	v_fma_f32 v59, v19, s8, -v59
	v_fmac_f32_e32 v60, 0x3ed4b147, v19
	v_add_f32_e32 v55, v55, v59
	v_mul_f32_e32 v59, 0xbf4178ce, v56
	v_add_f32_e32 v60, v63, v60
	v_mov_b32_e32 v63, v59
	v_fma_f32 v59, v19, s15, -v59
	v_add_f32_e32 v59, v64, v59
	v_mul_f32_e32 v64, 0x3e903f40, v56
	v_fmac_f32_e32 v63, 0xbf27a4f4, v19
	v_mov_b32_e32 v67, v64
	v_fma_f32 v64, v19, s16, -v64
	v_mul_f32_e32 v68, 0x3f7d64f0, v56
	v_mul_f32_e32 v56, 0x3f0a6770, v56
	v_add_f32_e32 v63, v69, v63
	v_add_f32_e32 v64, v70, v64
	v_mov_b32_e32 v69, v68
	v_mov_b32_e32 v70, v56
	v_fmac_f32_e32 v67, 0xbf75a155, v19
	v_fmac_f32_e32 v69, 0xbe11bafb, v19
	v_fma_f32 v68, v19, s9, -v68
	v_fmac_f32_e32 v70, 0x3f575c64, v19
	v_fma_f32 v19, v19, s14, -v56
	v_sub_f32_e32 v49, v49, v65
	v_add_f32_e32 v0, v0, v19
	v_add_f32_e32 v19, v66, v50
	v_mul_f32_e32 v50, 0xbf7d64f0, v49
	v_mov_b32_e32 v56, v50
	v_fma_f32 v50, v19, s9, -v50
	v_fmac_f32_e32 v56, 0xbe11bafb, v19
	v_add_f32_e32 v50, v55, v50
	v_mul_f32_e32 v55, 0x3e903f40, v49
	v_add_f32_e32 v56, v60, v56
	v_mov_b32_e32 v60, v55
	v_fma_f32 v55, v19, s16, -v55
	v_fmac_f32_e32 v60, 0xbf75a155, v19
	v_add_f32_e32 v55, v59, v55
	v_mul_f32_e32 v59, 0x3f68dda4, v49
	v_add_f32_e32 v60, v63, v60
	v_mov_b32_e32 v63, v59
	v_fma_f32 v59, v19, s8, -v59
	v_add_f32_e32 v59, v64, v59
	v_mul_f32_e32 v64, 0xbf0a6770, v49
	v_mul_f32_e32 v49, 0xbf4178ce, v49
	v_mov_b32_e32 v65, v64
	v_mov_b32_e32 v66, v49
	v_fmac_f32_e32 v63, 0x3ed4b147, v19
	v_fmac_f32_e32 v65, 0x3f575c64, v19
	v_fma_f32 v64, v19, s14, -v64
	v_fmac_f32_e32 v66, 0xbf27a4f4, v19
	v_fma_f32 v19, v19, s15, -v49
	v_sub_f32_e32 v43, v43, v61
	v_add_f32_e32 v0, v0, v19
	v_add_f32_e32 v19, v62, v44
	v_mul_f32_e32 v44, 0xbf4178ce, v43
	v_mov_b32_e32 v49, v44
	v_fma_f32 v44, v19, s15, -v44
	v_fmac_f32_e32 v49, 0xbf27a4f4, v19
	v_add_f32_e32 v44, v50, v44
	v_mul_f32_e32 v50, 0x3f7d64f0, v43
	v_add_f32_e32 v49, v56, v49
	v_mov_b32_e32 v56, v50
	v_fma_f32 v50, v19, s9, -v50
	v_fmac_f32_e32 v56, 0xbe11bafb, v19
	v_add_f32_e32 v50, v55, v50
	v_mul_f32_e32 v55, 0xbf0a6770, v43
	v_add_f32_e32 v56, v60, v56
	v_mov_b32_e32 v60, v55
	v_fma_f32 v55, v19, s14, -v55
	v_add_f32_e32 v55, v59, v55
	v_mul_f32_e32 v59, 0xbe903f40, v43
	v_mul_f32_e32 v43, 0x3f68dda4, v43
	v_mov_b32_e32 v61, v59
	v_mov_b32_e32 v62, v43
	v_fmac_f32_e32 v60, 0x3f575c64, v19
	v_fmac_f32_e32 v61, 0xbf75a155, v19
	v_fma_f32 v59, v19, s16, -v59
	v_fmac_f32_e32 v62, 0x3ed4b147, v19
	v_fma_f32 v19, v19, s8, -v43
	v_sub_f32_e32 v39, v39, v53
	v_add_f32_e32 v68, v76, v68
	v_add_f32_e32 v0, v0, v19
	;; [unrolled: 1-line block ×3, first 2 shown]
	v_mul_f32_e32 v40, 0xbe903f40, v39
	v_add_f32_e32 v67, v75, v67
	v_add_f32_e32 v64, v68, v64
	v_mov_b32_e32 v43, v40
	v_fma_f32 v40, v19, s16, -v40
	v_add_f32_e32 v70, v78, v70
	v_add_f32_e32 v63, v67, v63
	;; [unrolled: 1-line block ×3, first 2 shown]
	v_fmac_f32_e32 v43, 0xbf75a155, v19
	v_add_f32_e32 v64, v44, v40
	v_mul_f32_e32 v40, 0x3f0a6770, v39
	v_add_f32_e32 v69, v77, v69
	v_add_f32_e32 v66, v70, v66
	;; [unrolled: 1-line block ×4, first 2 shown]
	v_mov_b32_e32 v43, v40
	v_fma_f32 v40, v19, s14, -v40
	v_add_f32_e32 v65, v69, v65
	v_add_f32_e32 v62, v66, v62
	v_fmac_f32_e32 v43, 0x3f575c64, v19
	v_add_f32_e32 v66, v50, v40
	v_mul_f32_e32 v40, 0xbf4178ce, v39
	v_add_f32_e32 v61, v65, v61
	v_add_f32_e32 v65, v56, v43
	v_mov_b32_e32 v43, v40
	v_fma_f32 v40, v19, s15, -v40
	v_fmac_f32_e32 v43, 0xbf27a4f4, v19
	v_add_f32_e32 v68, v55, v40
	v_mul_f32_e32 v40, 0x3f68dda4, v39
	v_add_f32_e32 v67, v60, v43
	v_mov_b32_e32 v43, v40
	v_fma_f32 v40, v19, s8, -v40
	v_mul_f32_e32 v39, 0xbf7d64f0, v39
	v_add_f32_e32 v69, v59, v40
	v_mov_b32_e32 v40, v39
	v_fmac_f32_e32 v43, 0x3ed4b147, v19
	v_fmac_f32_e32 v40, 0xbe11bafb, v19
	v_fma_f32 v19, v19, s9, -v39
	v_add_f32_e32 v70, v0, v19
	v_add_f32_e32 v0, v20, v36
	;; [unrolled: 1-line block ×9, first 2 shown]
	v_sub_f32_e32 v19, v35, v51
	v_add_f32_e32 v61, v61, v43
	v_add_f32_e32 v0, v46, v0
	v_mul_f32_e32 v35, 0xbf0a6770, v19
	v_mul_f32_e32 v39, 0xbf68dda4, v19
	;; [unrolled: 1-line block ×5, first 2 shown]
	v_add_f32_e32 v62, v62, v40
	v_add_f32_e32 v75, v52, v0
	;; [unrolled: 1-line block ×3, first 2 shown]
	v_mov_b32_e32 v36, v35
	v_mov_b32_e32 v40, v39
	;; [unrolled: 1-line block ×5, first 2 shown]
	v_fmac_f32_e32 v36, 0x3f575c64, v0
	v_fma_f32 v35, v0, s14, -v35
	v_fmac_f32_e32 v40, 0x3ed4b147, v0
	v_fma_f32 v39, v0, s8, -v39
	v_fmac_f32_e32 v44, 0xbe11bafb, v0
	v_fma_f32 v43, v0, s9, -v43
	v_fmac_f32_e32 v50, 0xbf27a4f4, v0
	v_fma_f32 v49, v0, s15, -v49
	v_fmac_f32_e32 v51, 0xbf75a155, v0
	v_fma_f32 v0, v0, s16, -v19
	v_add_f32_e32 v36, v36, v20
	v_add_f32_e32 v35, v35, v20
	;; [unrolled: 1-line block ×10, first 2 shown]
	v_sub_f32_e32 v20, v21, v45
	v_add_f32_e32 v19, v46, v22
	v_mul_f32_e32 v21, 0xbf68dda4, v20
	v_mov_b32_e32 v22, v21
	v_fma_f32 v21, v19, s8, -v21
	v_fmac_f32_e32 v22, 0x3ed4b147, v19
	v_add_f32_e32 v21, v35, v21
	v_mul_f32_e32 v35, 0xbf4178ce, v20
	v_add_f32_e32 v22, v36, v22
	v_mov_b32_e32 v36, v35
	v_fma_f32 v35, v19, s15, -v35
	v_fmac_f32_e32 v36, 0xbf27a4f4, v19
	v_add_f32_e32 v35, v39, v35
	v_mul_f32_e32 v39, 0x3e903f40, v20
	v_add_f32_e32 v36, v40, v36
	v_mov_b32_e32 v40, v39
	v_fma_f32 v39, v19, s16, -v39
	v_fmac_f32_e32 v40, 0xbf75a155, v19
	v_add_f32_e32 v39, v43, v39
	v_mul_f32_e32 v43, 0x3f7d64f0, v20
	v_mul_f32_e32 v20, 0x3f0a6770, v20
	v_add_f32_e32 v40, v44, v40
	v_mov_b32_e32 v44, v43
	v_mov_b32_e32 v45, v20
	v_fmac_f32_e32 v44, 0xbe11bafb, v19
	v_fma_f32 v43, v19, s9, -v43
	v_fmac_f32_e32 v45, 0x3f575c64, v19
	v_fma_f32 v19, v19, s14, -v20
	v_sub_f32_e32 v20, v29, v37
	v_add_f32_e32 v0, v0, v19
	v_add_f32_e32 v19, v38, v30
	v_mul_f32_e32 v29, 0xbf7d64f0, v20
	v_mov_b32_e32 v30, v29
	v_fma_f32 v29, v19, s9, -v29
	v_fmac_f32_e32 v30, 0xbe11bafb, v19
	v_add_f32_e32 v21, v21, v29
	v_mul_f32_e32 v29, 0x3e903f40, v20
	v_add_f32_e32 v22, v22, v30
	v_mov_b32_e32 v30, v29
	v_fma_f32 v29, v19, s16, -v29
	v_fmac_f32_e32 v30, 0xbf75a155, v19
	v_add_f32_e32 v29, v35, v29
	v_mul_f32_e32 v35, 0x3f68dda4, v20
	v_add_f32_e32 v30, v36, v30
	v_mov_b32_e32 v36, v35
	v_fma_f32 v35, v19, s8, -v35
	v_mul_f32_e32 v37, 0xbf0a6770, v20
	v_mul_f32_e32 v20, 0xbf4178ce, v20
	v_add_f32_e32 v35, v39, v35
	v_mov_b32_e32 v38, v37
	v_mov_b32_e32 v39, v20
	v_fmac_f32_e32 v36, 0x3ed4b147, v19
	v_fmac_f32_e32 v38, 0x3f575c64, v19
	v_fma_f32 v37, v19, s14, -v37
	v_fmac_f32_e32 v39, 0xbf27a4f4, v19
	v_fma_f32 v19, v19, s15, -v20
	v_sub_f32_e32 v20, v27, v31
	v_add_f32_e32 v0, v0, v19
	v_add_f32_e32 v19, v32, v28
	v_mul_f32_e32 v27, 0xbf4178ce, v20
	v_sub_f32_e32 v13, v13, v17
	v_mov_b32_e32 v28, v27
	v_fma_f32 v27, v19, s15, -v27
	v_add_f32_e32 v14, v18, v14
	v_mul_f32_e32 v17, 0xbe903f40, v13
	v_fmac_f32_e32 v28, 0xbf27a4f4, v19
	v_add_f32_e32 v21, v21, v27
	v_mul_f32_e32 v27, 0x3f7d64f0, v20
	v_mov_b32_e32 v18, v17
	v_fma_f32 v17, v14, s16, -v17
	v_add_f32_e32 v22, v22, v28
	v_mov_b32_e32 v28, v27
	v_fma_f32 v27, v19, s9, -v27
	v_fmac_f32_e32 v18, 0xbf75a155, v14
	v_add_f32_e32 v77, v21, v17
	v_mul_f32_e32 v17, 0x3f0a6770, v13
	v_fmac_f32_e32 v28, 0xbe11bafb, v19
	v_add_f32_e32 v27, v29, v27
	v_mul_f32_e32 v29, 0xbf0a6770, v20
	v_add_f32_e32 v76, v22, v18
	v_mov_b32_e32 v18, v17
	v_fma_f32 v17, v14, s14, -v17
	v_add_f32_e32 v28, v30, v28
	v_mov_b32_e32 v30, v29
	v_fma_f32 v29, v19, s14, -v29
	v_fmac_f32_e32 v18, 0x3f575c64, v14
	v_add_f32_e32 v79, v27, v17
	v_mul_f32_e32 v17, 0xbf4178ce, v13
	v_add_f32_e32 v43, v49, v43
	v_add_f32_e32 v36, v40, v36
	v_fmac_f32_e32 v30, 0x3f575c64, v19
	v_add_f32_e32 v29, v35, v29
	v_mul_f32_e32 v31, 0xbe903f40, v20
	v_mul_f32_e32 v20, 0x3f68dda4, v20
	v_add_f32_e32 v78, v28, v18
	v_mov_b32_e32 v18, v17
	v_fma_f32 v17, v14, s15, -v17
	v_add_f32_e32 v37, v43, v37
	v_add_f32_e32 v30, v36, v30
	v_mov_b32_e32 v32, v31
	v_fma_f32 v31, v19, s16, -v31
	v_mov_b32_e32 v35, v20
	v_fmac_f32_e32 v18, 0xbf27a4f4, v14
	v_add_f32_e32 v81, v29, v17
	v_mul_f32_e32 v17, 0x3f68dda4, v13
	v_add_f32_e32 v45, v51, v45
	v_fmac_f32_e32 v32, 0xbf75a155, v19
	v_add_f32_e32 v31, v37, v31
	v_fmac_f32_e32 v35, 0x3ed4b147, v19
	v_fma_f32 v19, v19, s8, -v20
	v_add_f32_e32 v80, v30, v18
	v_mov_b32_e32 v18, v17
	v_fma_f32 v17, v14, s8, -v17
	v_mul_f32_e32 v13, 0xbf7d64f0, v13
	v_add_f32_e32 v44, v50, v44
	v_add_f32_e32 v39, v45, v39
	;; [unrolled: 1-line block ×4, first 2 shown]
	v_mov_b32_e32 v17, v13
	v_fma_f32 v13, v14, s9, -v13
	s_movk_i32 s6, 0xffd8
	v_add_f32_e32 v38, v44, v38
	v_add_f32_e32 v35, v39, v35
	v_fmac_f32_e32 v17, 0xbe11bafb, v14
	v_add_f32_e32 v85, v0, v13
	v_mad_i32_i24 v0, v73, s6, v72
	v_add_f32_e32 v32, v38, v32
	v_fmac_f32_e32 v18, 0x3ed4b147, v14
	v_add_f32_e32 v84, v35, v17
	v_add_u32_e32 v49, 0x400, v0
	v_add_u32_e32 v53, 0x600, v0
	;; [unrolled: 1-line block ×4, first 2 shown]
	v_mad_i32_i24 v17, v74, s6, v71
	v_add_u32_e32 v54, 0x800, v0
	v_add_f32_e32 v82, v32, v18
	s_waitcnt lgkmcnt(0)
	; wave barrier
	s_waitcnt lgkmcnt(0)
	ds_read2_b32 v[13:14], v0 offset1:110
	ds_read2_b32 v[45:46], v49 offset0:19 offset1:74
	ds_read2_b32 v[21:22], v53 offset0:111 offset1:166
	ds_read2_b32 v[43:44], v50 offset0:57 offset1:112
	ds_read2_b32 v[19:20], v51 offset0:21 offset1:76
	ds_read_b32 v60, v17
	ds_read2_b32 v[39:40], v54 offset0:93 offset1:148
	ds_read2_b32 v[37:38], v51 offset0:131 offset1:186
	;; [unrolled: 1-line block ×5, first 2 shown]
	v_add_u32_e32 v55, 0xa00, v0
	v_add_u32_e32 v59, 0x1200, v0
	ds_read2_b32 v[29:30], v55 offset0:75 offset1:130
	ds_read2_b32 v[27:28], v59 offset0:113 offset1:168
	v_add_u32_e32 v52, 0x6e, v73
	v_mul_i32_i24_e32 v56, 0xffffffd8, v74
	s_waitcnt lgkmcnt(0)
	; wave barrier
	s_waitcnt lgkmcnt(0)
	ds_write2_b32 v72, v5, v63 offset1:1
	ds_write2_b32 v72, v65, v67 offset0:2 offset1:3
	ds_write2_b32 v72, v61, v62 offset0:4 offset1:5
	;; [unrolled: 1-line block ×4, first 2 shown]
	ds_write_b32 v72, v64 offset:40
	ds_write2_b32 v71, v75, v76 offset1:1
	ds_write2_b32 v71, v78, v80 offset0:2 offset1:3
	ds_write2_b32 v71, v82, v84 offset0:4 offset1:5
	;; [unrolled: 1-line block ×4, first 2 shown]
	ds_write_b32 v71, v77 offset:40
	s_and_saveexec_b64 s[6:7], s[0:1]
	s_cbranch_execz .LBB0_19
; %bb.18:
	v_add_f32_e32 v5, v6, v34
	v_add_f32_e32 v5, v5, v16
	;; [unrolled: 1-line block ×7, first 2 shown]
	v_sub_f32_e32 v33, v33, v57
	v_add_f32_e32 v5, v42, v5
	v_mul_f32_e32 v57, 0xbf0a6770, v33
	v_mul_f32_e32 v61, 0xbf68dda4, v33
	;; [unrolled: 1-line block ×5, first 2 shown]
	v_add_f32_e32 v5, v48, v5
	v_add_f32_e32 v34, v34, v58
	s_mov_b32 s0, 0x3f575c64
	s_mov_b32 s1, 0x3ed4b147
	;; [unrolled: 1-line block ×5, first 2 shown]
	v_mov_b32_e32 v67, v33
	v_add_f32_e32 v5, v58, v5
	v_fma_f32 v58, v34, s0, -v57
	v_fmac_f32_e32 v57, 0x3f575c64, v34
	v_fma_f32 v62, v34, s1, -v61
	v_fmac_f32_e32 v61, 0x3ed4b147, v34
	;; [unrolled: 2-line block ×4, first 2 shown]
	v_fmac_f32_e32 v67, 0xbf75a155, v34
	v_fma_f32 v33, v34, s14, -v33
	v_sub_f32_e32 v15, v15, v47
	v_add_f32_e32 v57, v6, v57
	v_add_f32_e32 v58, v6, v58
	;; [unrolled: 1-line block ×11, first 2 shown]
	v_mul_f32_e32 v33, 0xbf68dda4, v15
	v_fma_f32 v34, v16, s1, -v33
	v_fmac_f32_e32 v33, 0x3ed4b147, v16
	v_mul_f32_e32 v47, 0xbf4178ce, v15
	v_add_f32_e32 v33, v57, v33
	v_fma_f32 v48, v16, s9, -v47
	v_fmac_f32_e32 v47, 0xbf27a4f4, v16
	v_mul_f32_e32 v57, 0x3e903f40, v15
	v_add_f32_e32 v34, v58, v34
	v_add_f32_e32 v47, v61, v47
	v_fma_f32 v58, v16, s14, -v57
	v_fmac_f32_e32 v57, 0xbf75a155, v16
	v_mul_f32_e32 v61, 0x3f7d64f0, v15
	v_mul_f32_e32 v15, 0x3f0a6770, v15
	v_add_f32_e32 v57, v63, v57
	v_mov_b32_e32 v63, v15
	v_fma_f32 v15, v16, s0, -v15
	v_sub_f32_e32 v7, v7, v41
	v_add_f32_e32 v6, v6, v15
	v_add_f32_e32 v8, v8, v42
	v_mul_f32_e32 v15, 0xbf7d64f0, v7
	v_add_f32_e32 v48, v62, v48
	v_fma_f32 v62, v16, s8, -v61
	v_fmac_f32_e32 v61, 0xbe11bafb, v16
	v_fmac_f32_e32 v63, 0x3f575c64, v16
	v_fma_f32 v16, v8, s8, -v15
	v_fmac_f32_e32 v15, 0xbe11bafb, v8
	v_add_f32_e32 v15, v33, v15
	v_mul_f32_e32 v33, 0x3e903f40, v7
	v_add_f32_e32 v16, v34, v16
	v_fma_f32 v34, v8, s14, -v33
	v_fmac_f32_e32 v33, 0xbf75a155, v8
	v_mul_f32_e32 v41, 0x3f68dda4, v7
	v_add_f32_e32 v33, v47, v33
	v_fma_f32 v42, v8, s1, -v41
	v_fmac_f32_e32 v41, 0x3ed4b147, v8
	v_mul_f32_e32 v47, 0xbf0a6770, v7
	v_mul_f32_e32 v7, 0xbf4178ce, v7
	v_add_f32_e32 v41, v57, v41
	v_mov_b32_e32 v57, v7
	v_add_f32_e32 v34, v48, v34
	v_fma_f32 v48, v8, s0, -v47
	v_fmac_f32_e32 v47, 0x3f575c64, v8
	v_fmac_f32_e32 v57, 0xbf27a4f4, v8
	v_fma_f32 v7, v8, s9, -v7
	v_sub_f32_e32 v8, v23, v25
	v_add_f32_e32 v6, v6, v7
	v_add_f32_e32 v7, v24, v26
	v_mul_f32_e32 v23, 0xbf4178ce, v8
	v_fma_f32 v24, v7, s9, -v23
	v_fmac_f32_e32 v23, 0xbf27a4f4, v7
	v_add_f32_e32 v15, v15, v23
	v_mul_f32_e32 v23, 0x3f7d64f0, v8
	v_add_f32_e32 v16, v16, v24
	v_fma_f32 v24, v7, s8, -v23
	v_fmac_f32_e32 v23, 0xbe11bafb, v7
	v_mul_f32_e32 v25, 0xbf0a6770, v8
	v_add_f32_e32 v23, v33, v23
	v_fma_f32 v26, v7, s0, -v25
	v_fmac_f32_e32 v25, 0x3f575c64, v7
	v_mul_f32_e32 v33, 0xbe903f40, v8
	v_mul_f32_e32 v8, 0x3f68dda4, v8
	v_add_f32_e32 v25, v41, v25
	v_mov_b32_e32 v41, v8
	v_add_f32_e32 v24, v34, v24
	v_fma_f32 v34, v7, s14, -v33
	v_fmac_f32_e32 v33, 0xbf75a155, v7
	v_fmac_f32_e32 v41, 0x3ed4b147, v7
	v_fma_f32 v7, v7, s1, -v8
	v_sub_f32_e32 v8, v9, v11
	v_add_f32_e32 v6, v6, v7
	v_add_f32_e32 v7, v10, v12
	v_mul_f32_e32 v9, 0xbe903f40, v8
	v_fma_f32 v10, v7, s14, -v9
	v_fmac_f32_e32 v9, 0xbf75a155, v7
	v_mul_f32_e32 v11, 0x3f0a6770, v8
	v_add_f32_e32 v9, v15, v9
	v_fma_f32 v12, v7, s0, -v11
	v_fmac_f32_e32 v11, 0x3f575c64, v7
	v_mul_f32_e32 v15, 0xbf4178ce, v8
	v_add_f32_e32 v10, v16, v10
	v_add_f32_e32 v11, v23, v11
	v_fma_f32 v16, v7, s9, -v15
	v_fmac_f32_e32 v15, 0xbf27a4f4, v7
	v_mul_f32_e32 v23, 0x3f68dda4, v8
	v_mul_f32_e32 v8, 0xbf7d64f0, v8
	v_add_f32_e32 v58, v64, v58
	v_add_f32_e32 v61, v65, v61
	;; [unrolled: 1-line block ×5, first 2 shown]
	v_mov_b32_e32 v25, v8
	v_add_f32_e32 v42, v58, v42
	v_add_f32_e32 v47, v61, v47
	;; [unrolled: 1-line block ×5, first 2 shown]
	v_fma_f32 v24, v7, s1, -v23
	v_fmac_f32_e32 v23, 0x3ed4b147, v7
	v_fmac_f32_e32 v25, 0xbe11bafb, v7
	v_fma_f32 v7, v7, s8, -v8
	v_add_f32_e32 v26, v42, v26
	v_add_f32_e32 v33, v47, v33
	;; [unrolled: 1-line block ×5, first 2 shown]
	v_mad_u32_u24 v7, v52, 44, 0
	v_add_f32_e32 v16, v26, v16
	v_add_f32_e32 v23, v33, v23
	;; [unrolled: 1-line block ×4, first 2 shown]
	ds_write2_b32 v7, v5, v9 offset1:1
	ds_write2_b32 v7, v11, v15 offset0:2 offset1:3
	ds_write2_b32 v7, v23, v25 offset0:4 offset1:5
	;; [unrolled: 1-line block ×4, first 2 shown]
	ds_write_b32 v7, v10 offset:40
.LBB0_19:
	s_or_b64 exec, exec, s[6:7]
	s_movk_i32 s0, 0x75
	v_mul_lo_u16_sdwa v5, v73, s0 dst_sel:DWORD dst_unused:UNUSED_PAD src0_sel:BYTE_0 src1_sel:DWORD
	v_sub_u16_sdwa v6, v73, v5 dst_sel:DWORD dst_unused:UNUSED_PAD src0_sel:DWORD src1_sel:BYTE_1
	v_lshrrev_b16_e32 v6, 1, v6
	v_and_b32_e32 v6, 0x7f, v6
	v_add_u16_sdwa v5, v6, v5 dst_sel:DWORD dst_unused:UNUSED_PAD src0_sel:DWORD src1_sel:BYTE_1
	v_lshrrev_b16_e32 v7, 3, v5
	v_mul_lo_u16_e32 v5, 11, v7
	v_sub_u16_e32 v23, v73, v5
	v_mov_b32_e32 v5, 5
	v_lshlrev_b32_sdwa v6, v5, v23 dst_sel:DWORD dst_unused:UNUSED_PAD src0_sel:DWORD src1_sel:BYTE_0
	s_waitcnt lgkmcnt(0)
	; wave barrier
	s_waitcnt lgkmcnt(0)
	global_load_dwordx4 v[61:64], v6, s[12:13] offset:16
	global_load_dwordx4 v[65:68], v6, s[12:13]
	v_mul_lo_u16_sdwa v6, v74, s0 dst_sel:DWORD dst_unused:UNUSED_PAD src0_sel:BYTE_0 src1_sel:DWORD
	v_sub_u16_sdwa v8, v74, v6 dst_sel:DWORD dst_unused:UNUSED_PAD src0_sel:DWORD src1_sel:BYTE_1
	v_lshrrev_b16_e32 v8, 1, v8
	v_and_b32_e32 v8, 0x7f, v8
	v_add_u16_sdwa v6, v8, v6 dst_sel:DWORD dst_unused:UNUSED_PAD src0_sel:DWORD src1_sel:BYTE_1
	v_lshrrev_b16_e32 v10, 3, v6
	v_mul_lo_u16_e32 v6, 11, v10
	v_sub_u16_e32 v48, v74, v6
	v_lshlrev_b32_sdwa v6, v5, v48 dst_sel:DWORD dst_unused:UNUSED_PAD src0_sel:DWORD src1_sel:BYTE_0
	global_load_dwordx4 v[75:78], v6, s[12:13]
	global_load_dwordx4 v[79:82], v6, s[12:13] offset:16
	v_mul_lo_u16_sdwa v6, v52, s0 dst_sel:DWORD dst_unused:UNUSED_PAD src0_sel:BYTE_0 src1_sel:DWORD
	v_sub_u16_sdwa v8, v52, v6 dst_sel:DWORD dst_unused:UNUSED_PAD src0_sel:DWORD src1_sel:BYTE_1
	v_lshrrev_b16_e32 v8, 1, v8
	v_and_b32_e32 v8, 0x7f, v8
	v_add_u16_sdwa v6, v8, v6 dst_sel:DWORD dst_unused:UNUSED_PAD src0_sel:DWORD src1_sel:BYTE_1
	v_lshrrev_b16_e32 v11, 3, v6
	v_mul_lo_u16_e32 v6, 11, v11
	v_sub_u16_e32 v115, v52, v6
	v_lshlrev_b32_sdwa v6, v5, v115 dst_sel:DWORD dst_unused:UNUSED_PAD src0_sel:DWORD src1_sel:BYTE_0
	global_load_dwordx4 v[83:86], v6, s[12:13]
	global_load_dwordx4 v[87:90], v6, s[12:13] offset:16
	v_add_u32_e32 v24, 0xa5, v73
	v_mul_lo_u16_sdwa v6, v24, s0 dst_sel:DWORD dst_unused:UNUSED_PAD src0_sel:BYTE_0 src1_sel:DWORD
	v_sub_u16_sdwa v8, v24, v6 dst_sel:DWORD dst_unused:UNUSED_PAD src0_sel:DWORD src1_sel:BYTE_1
	v_lshrrev_b16_e32 v8, 1, v8
	v_and_b32_e32 v8, 0x7f, v8
	v_add_u16_sdwa v6, v8, v6 dst_sel:DWORD dst_unused:UNUSED_PAD src0_sel:DWORD src1_sel:BYTE_1
	v_lshrrev_b16_e32 v12, 3, v6
	v_mul_lo_u16_e32 v6, 11, v12
	v_sub_u16_e32 v116, v24, v6
	v_lshlrev_b32_sdwa v5, v5, v116 dst_sel:DWORD dst_unused:UNUSED_PAD src0_sel:DWORD src1_sel:BYTE_0
	global_load_dwordx4 v[91:94], v5, s[12:13]
	global_load_dwordx4 v[95:98], v5, s[12:13] offset:16
	v_add_u32_e32 v47, 0xdc, v73
	s_mov_b32 s0, 0xba2f
	v_mul_u32_u24_sdwa v8, v47, s0 dst_sel:DWORD dst_unused:UNUSED_PAD src0_sel:WORD_0 src1_sel:DWORD
	v_lshrrev_b32_e32 v16, 19, v8
	v_mul_lo_u16_e32 v8, 11, v16
	v_sub_u16_e32 v117, v47, v8
	v_lshlrev_b32_e32 v8, 5, v117
	ds_read2_b32 v[5:6], v0 offset1:110
	ds_read2_b32 v[25:26], v49 offset0:19 offset1:74
	ds_read2_b32 v[33:34], v53 offset0:111 offset1:166
	;; [unrolled: 1-line block ×4, first 2 shown]
	global_load_dwordx4 v[99:102], v8, s[12:13] offset:16
	global_load_dwordx4 v[103:106], v8, s[12:13]
	v_add_u32_e32 v56, v71, v56
	ds_read2_b32 v[69:70], v54 offset0:93 offset1:148
	ds_read2_b32 v[71:72], v51 offset0:131 offset1:186
	;; [unrolled: 1-line block ×7, first 2 shown]
	ds_read_b32 v15, v56
	v_mov_b32_e32 v118, 2
	v_lshlrev_b32_sdwa v23, v118, v23 dst_sel:DWORD dst_unused:UNUSED_PAD src0_sel:DWORD src1_sel:BYTE_0
	v_mul_u32_u24_e32 v7, 0xdc, v7
	v_lshlrev_b32_sdwa v48, v118, v48 dst_sel:DWORD dst_unused:UNUSED_PAD src0_sel:DWORD src1_sel:BYTE_0
	s_waitcnt lgkmcnt(0)
	; wave barrier
	s_waitcnt vmcnt(9) lgkmcnt(0)
	v_mul_f32_e32 v121, v41, v62
	s_waitcnt vmcnt(8)
	v_mul_f32_e32 v119, v25, v66
	v_mul_f32_e32 v66, v45, v66
	;; [unrolled: 1-line block ×4, first 2 shown]
	v_fmac_f32_e32 v66, v25, v65
	v_fma_f32 v25, v43, v61, -v121
	v_mul_f32_e32 v68, v22, v68
	v_fma_f32 v22, v22, v67, -v120
	v_mul_f32_e32 v122, v58, v64
	v_mul_f32_e32 v64, v20, v64
	s_waitcnt vmcnt(6)
	v_mul_f32_e32 v43, v42, v80
	v_fma_f32 v43, v44, v79, -v43
	v_mul_f32_e32 v44, v44, v80
	v_fmac_f32_e32 v44, v42, v79
	v_mul_f32_e32 v42, v71, v82
	v_add_f32_e32 v79, v22, v25
	v_fmac_f32_e32 v64, v58, v63
	v_fma_f32 v42, v37, v81, -v42
	v_mul_f32_e32 v37, v37, v82
	s_waitcnt vmcnt(5)
	v_mul_f32_e32 v58, v107, v84
	v_fma_f32 v79, -0.5, v79, v13
	v_fma_f32 v45, v45, v65, -v119
	v_fmac_f32_e32 v68, v34, v67
	v_fmac_f32_e32 v62, v41, v61
	v_fma_f32 v20, v20, v63, -v122
	v_fmac_f32_e32 v37, v71, v81
	v_fma_f32 v58, v35, v83, -v58
	v_mul_f32_e32 v35, v35, v84
	v_sub_f32_e32 v80, v66, v64
	v_mov_b32_e32 v81, v79
	v_fmac_f32_e32 v35, v107, v83
	v_fmac_f32_e32 v81, 0x3f737871, v80
	v_sub_f32_e32 v82, v68, v62
	v_sub_f32_e32 v83, v45, v22
	;; [unrolled: 1-line block ×3, first 2 shown]
	v_fmac_f32_e32 v79, 0xbf737871, v80
	v_mul_f32_e32 v41, v46, v76
	v_fmac_f32_e32 v81, 0x3f167918, v82
	v_add_f32_e32 v83, v83, v84
	v_fmac_f32_e32 v79, 0xbf167918, v82
	v_mul_f32_e32 v123, v26, v76
	v_fmac_f32_e32 v41, v26, v75
	v_mul_f32_e32 v26, v69, v78
	v_fmac_f32_e32 v81, 0x3e9e377a, v83
	v_fmac_f32_e32 v79, 0x3e9e377a, v83
	v_add_f32_e32 v83, v45, v20
	v_fma_f32 v26, v39, v77, -v26
	v_mul_f32_e32 v39, v39, v78
	v_add_f32_e32 v78, v13, v45
	v_fma_f32 v13, -0.5, v83, v13
	v_mov_b32_e32 v83, v13
	v_fmac_f32_e32 v83, 0xbf737871, v82
	v_fmac_f32_e32 v13, 0x3f737871, v82
	;; [unrolled: 1-line block ×4, first 2 shown]
	v_add_f32_e32 v80, v5, v66
	s_waitcnt vmcnt(4)
	v_mul_f32_e32 v65, v72, v90
	v_add_f32_e32 v80, v80, v68
	v_fma_f32 v65, v38, v89, -v65
	v_mul_f32_e32 v38, v38, v90
	v_add_f32_e32 v80, v80, v62
	v_fmac_f32_e32 v39, v69, v77
	v_mul_f32_e32 v61, v70, v86
	v_fmac_f32_e32 v38, v72, v89
	s_waitcnt vmcnt(3)
	v_mul_f32_e32 v69, v108, v92
	v_add_f32_e32 v78, v78, v22
	v_add_f32_e32 v89, v80, v64
	;; [unrolled: 1-line block ×3, first 2 shown]
	v_fma_f32 v61, v40, v85, -v61
	v_mul_f32_e32 v40, v40, v86
	v_fma_f32 v69, v36, v91, -v69
	v_mul_f32_e32 v36, v36, v92
	v_add_f32_e32 v78, v78, v25
	v_fma_f32 v90, -0.5, v80, v5
	v_fmac_f32_e32 v40, v70, v85
	v_fmac_f32_e32 v36, v108, v91
	v_add_f32_e32 v78, v78, v20
	v_sub_f32_e32 v85, v25, v20
	v_sub_f32_e32 v20, v45, v20
	v_mov_b32_e32 v91, v90
	v_sub_f32_e32 v84, v22, v45
	v_fmac_f32_e32 v91, 0xbf737871, v20
	v_sub_f32_e32 v22, v22, v25
	v_sub_f32_e32 v25, v66, v68
	;; [unrolled: 1-line block ×3, first 2 shown]
	v_fmac_f32_e32 v90, 0x3f737871, v20
	v_fmac_f32_e32 v91, 0xbf167918, v22
	v_add_f32_e32 v25, v25, v45
	v_fmac_f32_e32 v90, 0x3f167918, v22
	v_fmac_f32_e32 v91, 0x3e9e377a, v25
	;; [unrolled: 1-line block ×3, first 2 shown]
	v_add_f32_e32 v25, v66, v64
	v_fma_f32 v5, -0.5, v25, v5
	v_mov_b32_e32 v25, v5
	v_fmac_f32_e32 v25, 0x3f737871, v22
	v_sub_f32_e32 v45, v68, v66
	v_sub_f32_e32 v62, v62, v64
	v_fmac_f32_e32 v5, 0xbf737871, v22
	v_add_f32_e32 v22, v26, v43
	v_fmac_f32_e32 v25, 0xbf167918, v20
	v_add_f32_e32 v45, v45, v62
	v_fmac_f32_e32 v5, 0x3f167918, v20
	v_fma_f32 v22, -0.5, v22, v60
	v_fma_f32 v34, v46, v75, -v123
	v_fmac_f32_e32 v25, 0x3e9e377a, v45
	v_fmac_f32_e32 v5, 0x3e9e377a, v45
	v_sub_f32_e32 v45, v41, v37
	v_mov_b32_e32 v62, v22
	v_fmac_f32_e32 v62, 0x3f737871, v45
	v_sub_f32_e32 v64, v39, v44
	v_sub_f32_e32 v66, v34, v26
	;; [unrolled: 1-line block ×3, first 2 shown]
	v_fmac_f32_e32 v22, 0xbf737871, v45
	v_fmac_f32_e32 v62, 0x3f167918, v64
	v_add_f32_e32 v66, v66, v68
	v_fmac_f32_e32 v22, 0xbf167918, v64
	v_fmac_f32_e32 v62, 0x3e9e377a, v66
	;; [unrolled: 1-line block ×3, first 2 shown]
	v_add_f32_e32 v66, v34, v42
	v_add_f32_e32 v20, v60, v34
	v_fmac_f32_e32 v60, -0.5, v66
	v_mov_b32_e32 v66, v60
	v_fmac_f32_e32 v66, 0xbf737871, v64
	v_fmac_f32_e32 v60, 0x3f737871, v64
	;; [unrolled: 1-line block ×4, first 2 shown]
	v_add_f32_e32 v45, v15, v41
	v_add_f32_e32 v45, v45, v39
	v_sub_f32_e32 v68, v26, v34
	v_sub_f32_e32 v80, v43, v42
	v_add_f32_e32 v45, v45, v44
	v_add_f32_e32 v20, v20, v26
	;; [unrolled: 1-line block ×6, first 2 shown]
	v_fmac_f32_e32 v66, 0x3e9e377a, v68
	v_fmac_f32_e32 v60, 0x3e9e377a, v68
	v_fma_f32 v68, -0.5, v45, v15
	v_add_f32_e32 v20, v20, v42
	v_sub_f32_e32 v34, v34, v42
	v_mov_b32_e32 v42, v68
	v_fmac_f32_e32 v42, 0xbf737871, v34
	v_sub_f32_e32 v26, v26, v43
	v_sub_f32_e32 v43, v41, v39
	;; [unrolled: 1-line block ×3, first 2 shown]
	v_fmac_f32_e32 v68, 0x3f737871, v34
	v_fmac_f32_e32 v42, 0xbf167918, v26
	v_add_f32_e32 v43, v43, v45
	v_fmac_f32_e32 v68, 0x3f167918, v26
	v_fmac_f32_e32 v42, 0x3e9e377a, v43
	;; [unrolled: 1-line block ×3, first 2 shown]
	v_add_f32_e32 v43, v41, v37
	v_fmac_f32_e32 v15, -0.5, v43
	v_mul_f32_e32 v63, v109, v88
	v_mov_b32_e32 v43, v15
	v_fma_f32 v63, v31, v87, -v63
	v_fmac_f32_e32 v43, 0x3f737871, v26
	v_fmac_f32_e32 v15, 0xbf737871, v26
	;; [unrolled: 1-line block ×3, first 2 shown]
	v_sub_f32_e32 v39, v39, v41
	v_sub_f32_e32 v37, v44, v37
	v_fmac_f32_e32 v15, 0x3f167918, v34
	v_add_f32_e32 v34, v61, v63
	v_mul_f32_e32 v31, v31, v88
	v_add_f32_e32 v37, v39, v37
	v_fma_f32 v34, -0.5, v34, v14
	v_fmac_f32_e32 v31, v109, v87
	v_fmac_f32_e32 v43, 0x3e9e377a, v37
	;; [unrolled: 1-line block ×3, first 2 shown]
	v_sub_f32_e32 v37, v35, v38
	v_mov_b32_e32 v39, v34
	v_fmac_f32_e32 v39, 0x3f737871, v37
	v_sub_f32_e32 v41, v40, v31
	v_sub_f32_e32 v44, v58, v61
	;; [unrolled: 1-line block ×3, first 2 shown]
	v_fmac_f32_e32 v34, 0xbf737871, v37
	v_fmac_f32_e32 v39, 0x3f167918, v41
	v_add_f32_e32 v44, v44, v45
	v_fmac_f32_e32 v34, 0xbf167918, v41
	v_fmac_f32_e32 v39, 0x3e9e377a, v44
	;; [unrolled: 1-line block ×3, first 2 shown]
	v_add_f32_e32 v44, v58, v65
	v_add_f32_e32 v26, v14, v58
	v_fmac_f32_e32 v14, -0.5, v44
	v_mov_b32_e32 v44, v14
	v_add_f32_e32 v26, v26, v61
	v_fmac_f32_e32 v44, 0xbf737871, v41
	v_sub_f32_e32 v45, v61, v58
	v_sub_f32_e32 v80, v63, v65
	v_fmac_f32_e32 v14, 0x3f737871, v41
	v_add_f32_e32 v41, v40, v31
	v_add_f32_e32 v26, v26, v63
	v_fmac_f32_e32 v44, 0x3f167918, v37
	v_add_f32_e32 v45, v45, v80
	v_fmac_f32_e32 v14, 0xbf167918, v37
	v_fma_f32 v41, -0.5, v41, v6
	v_add_f32_e32 v26, v26, v65
	v_fmac_f32_e32 v44, 0x3e9e377a, v45
	v_fmac_f32_e32 v14, 0x3e9e377a, v45
	v_sub_f32_e32 v45, v58, v65
	v_mov_b32_e32 v65, v41
	v_add_f32_e32 v37, v6, v35
	v_fmac_f32_e32 v65, 0xbf737871, v45
	v_sub_f32_e32 v58, v61, v63
	v_sub_f32_e32 v61, v35, v40
	;; [unrolled: 1-line block ×3, first 2 shown]
	v_fmac_f32_e32 v41, 0x3f737871, v45
	v_mul_f32_e32 v70, v111, v94
	s_waitcnt vmcnt(2)
	v_mul_f32_e32 v71, v110, v96
	v_add_f32_e32 v37, v37, v40
	v_fmac_f32_e32 v65, 0xbf167918, v58
	v_add_f32_e32 v61, v61, v63
	v_fmac_f32_e32 v41, 0x3f167918, v58
	v_fma_f32 v70, v29, v93, -v70
	v_fma_f32 v71, v32, v95, -v71
	v_mul_f32_e32 v72, v113, v98
	v_add_f32_e32 v37, v37, v31
	v_fmac_f32_e32 v65, 0x3e9e377a, v61
	v_fmac_f32_e32 v41, 0x3e9e377a, v61
	v_add_f32_e32 v61, v35, v38
	v_sub_f32_e32 v35, v40, v35
	v_sub_f32_e32 v31, v31, v38
	v_fma_f32 v72, v27, v97, -v72
	v_mul_f32_e32 v27, v27, v98
	v_fmac_f32_e32 v6, -0.5, v61
	v_add_f32_e32 v31, v35, v31
	v_add_f32_e32 v35, v70, v71
	v_mul_f32_e32 v29, v29, v94
	v_mul_f32_e32 v32, v32, v96
	v_fmac_f32_e32 v27, v113, v97
	v_mov_b32_e32 v61, v6
	v_fma_f32 v35, -0.5, v35, v17
	v_fmac_f32_e32 v29, v111, v93
	v_fmac_f32_e32 v32, v110, v95
	v_add_f32_e32 v37, v37, v38
	v_fmac_f32_e32 v61, 0x3f737871, v58
	v_fmac_f32_e32 v6, 0xbf737871, v58
	v_sub_f32_e32 v38, v36, v27
	v_mov_b32_e32 v40, v35
	v_fmac_f32_e32 v61, 0xbf167918, v45
	v_fmac_f32_e32 v6, 0x3f167918, v45
	;; [unrolled: 1-line block ×3, first 2 shown]
	v_sub_f32_e32 v45, v29, v32
	v_sub_f32_e32 v58, v69, v70
	;; [unrolled: 1-line block ×3, first 2 shown]
	v_fmac_f32_e32 v35, 0xbf737871, v38
	v_fmac_f32_e32 v40, 0x3f167918, v45
	v_add_f32_e32 v58, v58, v63
	v_fmac_f32_e32 v35, 0xbf167918, v45
	v_fmac_f32_e32 v40, 0x3e9e377a, v58
	;; [unrolled: 1-line block ×3, first 2 shown]
	v_add_f32_e32 v58, v69, v72
	v_fmac_f32_e32 v61, 0x3e9e377a, v31
	v_fmac_f32_e32 v6, 0x3e9e377a, v31
	v_add_f32_e32 v31, v17, v69
	v_fma_f32 v17, -0.5, v58, v17
	v_mov_b32_e32 v58, v17
	v_fmac_f32_e32 v58, 0xbf737871, v45
	v_sub_f32_e32 v63, v70, v69
	v_sub_f32_e32 v80, v71, v72
	v_fmac_f32_e32 v17, 0x3f737871, v45
	v_fmac_f32_e32 v58, 0x3f167918, v38
	v_add_f32_e32 v63, v63, v80
	v_fmac_f32_e32 v17, 0xbf167918, v38
	v_add_f32_e32 v45, v29, v32
	v_add_f32_e32 v31, v31, v70
	v_fmac_f32_e32 v58, 0x3e9e377a, v63
	v_fmac_f32_e32 v17, 0x3e9e377a, v63
	v_fma_f32 v63, -0.5, v45, v8
	v_add_f32_e32 v31, v31, v71
	v_sub_f32_e32 v45, v69, v72
	v_mov_b32_e32 v69, v63
	s_waitcnt vmcnt(0)
	v_mul_f32_e32 v76, v33, v104
	v_add_f32_e32 v31, v31, v72
	v_add_f32_e32 v38, v8, v36
	v_fmac_f32_e32 v69, 0xbf737871, v45
	v_sub_f32_e32 v70, v70, v71
	v_sub_f32_e32 v71, v36, v29
	v_sub_f32_e32 v72, v27, v32
	v_fmac_f32_e32 v63, 0x3f737871, v45
	v_fma_f32 v76, v21, v103, -v76
	v_mul_f32_e32 v21, v21, v104
	v_mul_f32_e32 v77, v57, v100
	v_add_f32_e32 v38, v38, v29
	v_fmac_f32_e32 v69, 0xbf167918, v70
	v_add_f32_e32 v71, v71, v72
	v_fmac_f32_e32 v63, 0x3f167918, v70
	v_fmac_f32_e32 v21, v33, v103
	v_mul_f32_e32 v33, v112, v106
	v_fma_f32 v77, v19, v99, -v77
	v_mul_f32_e32 v19, v19, v100
	v_add_f32_e32 v38, v38, v32
	v_fmac_f32_e32 v69, 0x3e9e377a, v71
	v_fmac_f32_e32 v63, 0x3e9e377a, v71
	v_add_f32_e32 v71, v36, v27
	v_fma_f32 v33, v30, v105, -v33
	v_fmac_f32_e32 v19, v57, v99
	v_mul_f32_e32 v57, v114, v102
	v_add_f32_e32 v38, v38, v27
	v_fma_f32 v71, -0.5, v71, v8
	v_sub_f32_e32 v8, v29, v36
	v_sub_f32_e32 v27, v32, v27
	v_fma_f32 v57, v28, v101, -v57
	v_mul_f32_e32 v28, v28, v102
	v_add_f32_e32 v8, v8, v27
	v_add_f32_e32 v27, v33, v77
	v_mul_f32_e32 v30, v30, v106
	v_fmac_f32_e32 v28, v114, v101
	v_mov_b32_e32 v72, v71
	v_fma_f32 v27, -0.5, v27, v18
	v_fmac_f32_e32 v30, v112, v105
	v_fmac_f32_e32 v72, 0x3f737871, v70
	;; [unrolled: 1-line block ×3, first 2 shown]
	v_sub_f32_e32 v29, v21, v28
	v_mov_b32_e32 v32, v27
	v_fmac_f32_e32 v72, 0xbf167918, v45
	v_fmac_f32_e32 v71, 0x3f167918, v45
	;; [unrolled: 1-line block ×3, first 2 shown]
	v_sub_f32_e32 v36, v30, v19
	v_sub_f32_e32 v45, v76, v33
	;; [unrolled: 1-line block ×3, first 2 shown]
	v_fmac_f32_e32 v27, 0xbf737871, v29
	v_fmac_f32_e32 v32, 0x3f167918, v36
	v_add_f32_e32 v45, v45, v70
	v_fmac_f32_e32 v27, 0xbf167918, v36
	v_fmac_f32_e32 v32, 0x3e9e377a, v45
	;; [unrolled: 1-line block ×3, first 2 shown]
	v_add_f32_e32 v45, v76, v57
	v_fmac_f32_e32 v72, 0x3e9e377a, v8
	v_fmac_f32_e32 v71, 0x3e9e377a, v8
	v_add_f32_e32 v8, v18, v76
	v_fmac_f32_e32 v18, -0.5, v45
	v_mov_b32_e32 v45, v18
	v_add_f32_e32 v8, v8, v33
	v_fmac_f32_e32 v45, 0xbf737871, v36
	v_sub_f32_e32 v70, v33, v76
	v_sub_f32_e32 v80, v77, v57
	v_fmac_f32_e32 v18, 0x3f737871, v36
	v_add_f32_e32 v36, v30, v19
	v_add_f32_e32 v8, v8, v77
	v_fmac_f32_e32 v45, 0x3f167918, v29
	v_add_f32_e32 v70, v70, v80
	v_fmac_f32_e32 v18, 0xbf167918, v29
	v_fma_f32 v36, -0.5, v36, v9
	v_add_f32_e32 v8, v8, v57
	v_fmac_f32_e32 v45, 0x3e9e377a, v70
	v_fmac_f32_e32 v18, 0x3e9e377a, v70
	v_sub_f32_e32 v57, v76, v57
	v_mov_b32_e32 v70, v36
	v_fmac_f32_e32 v70, 0xbf737871, v57
	v_sub_f32_e32 v33, v33, v77
	v_sub_f32_e32 v76, v21, v30
	;; [unrolled: 1-line block ×3, first 2 shown]
	v_fmac_f32_e32 v36, 0x3f737871, v57
	v_fmac_f32_e32 v70, 0xbf167918, v33
	v_add_f32_e32 v76, v76, v77
	v_fmac_f32_e32 v36, 0x3f167918, v33
	v_fmac_f32_e32 v70, 0x3e9e377a, v76
	;; [unrolled: 1-line block ×3, first 2 shown]
	v_add_f32_e32 v76, v21, v28
	v_add_f32_e32 v29, v9, v21
	v_fmac_f32_e32 v9, -0.5, v76
	v_add_f32_e32 v29, v29, v30
	v_mov_b32_e32 v92, v9
	v_add_f32_e32 v29, v29, v19
	v_fmac_f32_e32 v92, 0x3f737871, v33
	v_sub_f32_e32 v21, v30, v21
	v_sub_f32_e32 v19, v19, v28
	v_fmac_f32_e32 v9, 0xbf737871, v33
	v_fmac_f32_e32 v92, 0xbf167918, v57
	v_add_f32_e32 v19, v21, v19
	v_fmac_f32_e32 v9, 0x3f167918, v57
	v_add_f32_e32 v84, v84, v85
	v_fmac_f32_e32 v92, 0x3e9e377a, v19
	v_fmac_f32_e32 v9, 0x3e9e377a, v19
	v_add3_u32 v19, 0, v7, v23
	v_mul_u32_u24_e32 v7, 0xdc, v10
	v_lshlrev_b32_sdwa v46, v118, v115 dst_sel:DWORD dst_unused:UNUSED_PAD src0_sel:DWORD src1_sel:BYTE_0
	v_fmac_f32_e32 v13, 0x3e9e377a, v84
	v_add3_u32 v10, 0, v7, v48
	v_mul_u32_u24_e32 v7, 0xdc, v11
	v_lshlrev_b32_sdwa v67, v118, v116 dst_sel:DWORD dst_unused:UNUSED_PAD src0_sel:DWORD src1_sel:BYTE_0
	v_fmac_f32_e32 v83, 0x3e9e377a, v84
	ds_write2_b32 v19, v78, v81 offset1:11
	ds_write2_b32 v19, v83, v13 offset0:22 offset1:33
	ds_write_b32 v19, v79 offset:176
	v_add3_u32 v13, 0, v7, v46
	v_mul_u32_u24_e32 v7, 0xdc, v12
	v_lshlrev_b32_e32 v75, 2, v117
	ds_write2_b32 v10, v20, v62 offset1:11
	ds_write2_b32 v10, v66, v60 offset0:22 offset1:33
	ds_write_b32 v10, v22 offset:176
	ds_write2_b32 v13, v26, v39 offset1:11
	ds_write2_b32 v13, v44, v14 offset0:22 offset1:33
	ds_write_b32 v13, v34 offset:176
	v_add3_u32 v14, 0, v7, v67
	v_mul_u32_u24_e32 v7, 0xdc, v16
	v_add3_u32 v16, 0, v7, v75
	v_add_f32_e32 v29, v29, v28
	ds_write2_b32 v14, v31, v40 offset1:11
	ds_write2_b32 v14, v58, v17 offset0:22 offset1:33
	ds_write_b32 v14, v35 offset:176
	ds_write2_b32 v16, v8, v32 offset1:11
	ds_write2_b32 v16, v45, v18 offset0:22 offset1:33
	ds_write_b32 v16, v27 offset:176
	s_waitcnt lgkmcnt(0)
	; wave barrier
	s_waitcnt lgkmcnt(0)
	ds_read2_b32 v[7:8], v0 offset1:110
	ds_read2_b32 v[21:22], v49 offset0:19 offset1:74
	ds_read2_b32 v[45:46], v53 offset0:111 offset1:166
	ds_read2_b32 v[57:58], v50 offset0:57 offset1:112
	ds_read2_b32 v[75:76], v51 offset0:21 offset1:76
	ds_read_b32 v17, v56
	ds_read2_b32 v[77:78], v54 offset0:93 offset1:148
	ds_read2_b32 v[79:80], v51 offset0:131 offset1:186
	;; [unrolled: 1-line block ×7, first 2 shown]
	s_waitcnt lgkmcnt(0)
	; wave barrier
	s_waitcnt lgkmcnt(0)
	ds_write2_b32 v19, v89, v91 offset1:11
	ds_write2_b32 v19, v25, v5 offset0:22 offset1:33
	ds_write_b32 v19, v90 offset:176
	ds_write2_b32 v10, v64, v42 offset1:11
	ds_write2_b32 v10, v43, v15 offset0:22 offset1:33
	ds_write_b32 v10, v68 offset:176
	;; [unrolled: 3-line block ×5, first 2 shown]
	v_lshlrev_b32_e32 v9, 2, v73
	v_mov_b32_e32 v10, 0
	v_lshlrev_b64 v[5:6], 3, v[9:10]
	v_mov_b32_e32 v9, s13
	v_add_co_u32_e64 v5, s[0:1], s12, v5
	v_addc_co_u32_e64 v6, s[0:1], v9, v6, s[0:1]
	s_movk_i32 s0, 0x95
	v_mul_lo_u16_sdwa v9, v52, s0 dst_sel:DWORD dst_unused:UNUSED_PAD src0_sel:BYTE_0 src1_sel:DWORD
	v_lshrrev_b16_e32 v9, 13, v9
	v_mul_lo_u16_e32 v9, 55, v9
	v_sub_u16_e32 v9, v52, v9
	v_and_b32_e32 v9, 0xff, v9
	v_lshlrev_b32_e32 v13, 5, v9
	s_waitcnt lgkmcnt(0)
	; wave barrier
	s_waitcnt lgkmcnt(0)
	global_load_dwordx4 v[25:28], v[5:6], off offset:352
	global_load_dwordx4 v[29:32], v[5:6], off offset:368
	global_load_dwordx4 v[33:36], v13, s[12:13] offset:352
	global_load_dwordx4 v[37:40], v13, s[12:13] offset:368
	v_mul_lo_u16_sdwa v13, v24, s0 dst_sel:DWORD dst_unused:UNUSED_PAD src0_sel:BYTE_0 src1_sel:DWORD
	v_lshrrev_b16_e32 v13, 13, v13
	v_mul_lo_u16_e32 v13, 55, v13
	v_sub_u16_e32 v13, v24, v13
	v_and_b32_e32 v18, 0xff, v13
	v_lshlrev_b32_e32 v13, 5, v18
	s_movk_i32 s0, 0x29e5
	global_load_dwordx4 v[41:44], v13, s[12:13] offset:352
	global_load_dwordx4 v[60:63], v13, s[12:13] offset:368
	v_mul_u32_u24_sdwa v13, v47, s0 dst_sel:DWORD dst_unused:UNUSED_PAD src0_sel:WORD_0 src1_sel:DWORD
	v_sub_u16_sdwa v14, v47, v13 dst_sel:DWORD dst_unused:UNUSED_PAD src0_sel:DWORD src1_sel:WORD_1
	v_lshrrev_b16_e32 v14, 1, v14
	v_add_u16_sdwa v13, v14, v13 dst_sel:DWORD dst_unused:UNUSED_PAD src0_sel:DWORD src1_sel:WORD_1
	v_lshrrev_b16_e32 v13, 5, v13
	v_mul_lo_u16_e32 v13, 55, v13
	v_sub_u16_e32 v20, v47, v13
	v_lshlrev_b32_e32 v13, 5, v20
	global_load_dwordx4 v[64:67], v13, s[12:13] offset:352
	global_load_dwordx4 v[68:71], v13, s[12:13] offset:368
	ds_read2_b32 v[13:14], v0 offset1:110
	ds_read2_b32 v[89:90], v49 offset0:19 offset1:74
	ds_read2_b32 v[91:92], v53 offset0:111 offset1:166
	;; [unrolled: 1-line block ×4, first 2 shown]
	ds_read_b32 v19, v56
	ds_read2_b32 v[97:98], v54 offset0:93 offset1:148
	ds_read2_b32 v[99:100], v51 offset0:131 offset1:186
	;; [unrolled: 1-line block ×7, first 2 shown]
	v_lshl_add_u32 v9, v9, 2, 0
	v_lshl_add_u32 v18, v18, 2, 0
	s_waitcnt lgkmcnt(0)
	; wave barrier
	s_waitcnt vmcnt(7) lgkmcnt(0)
	v_mul_f32_e32 v48, v92, v28
	v_fma_f32 v48, v46, v27, -v48
	v_mul_f32_e32 v46, v46, v28
	v_mul_f32_e32 v23, v89, v26
	v_fmac_f32_e32 v46, v92, v27
	v_mul_f32_e32 v92, v90, v26
	v_fma_f32 v23, v21, v25, -v23
	v_mul_f32_e32 v21, v21, v26
	v_fma_f32 v92, v22, v25, -v92
	v_mul_f32_e32 v22, v22, v26
	v_fmac_f32_e32 v21, v89, v25
	s_waitcnt vmcnt(6)
	v_mul_f32_e32 v72, v93, v30
	v_fmac_f32_e32 v22, v90, v25
	v_mul_f32_e32 v25, v97, v28
	v_mul_f32_e32 v26, v77, v28
	v_fma_f32 v72, v57, v29, -v72
	v_mul_f32_e32 v57, v57, v30
	v_mul_f32_e32 v89, v96, v32
	v_fma_f32 v25, v77, v27, -v25
	v_fmac_f32_e32 v26, v97, v27
	v_mul_f32_e32 v27, v94, v30
	v_mul_f32_e32 v28, v58, v30
	v_fmac_f32_e32 v57, v93, v29
	v_fma_f32 v89, v76, v31, -v89
	v_mul_f32_e32 v76, v76, v32
	v_fma_f32 v27, v58, v29, -v27
	v_fmac_f32_e32 v28, v94, v29
	v_mul_f32_e32 v29, v99, v32
	v_mul_f32_e32 v30, v79, v32
	v_fmac_f32_e32 v76, v96, v31
	v_fma_f32 v29, v79, v31, -v29
	v_fmac_f32_e32 v30, v99, v31
	s_waitcnt vmcnt(5)
	v_mul_f32_e32 v31, v101, v34
	v_mul_f32_e32 v32, v81, v34
	v_fma_f32 v31, v81, v33, -v31
	v_fmac_f32_e32 v32, v101, v33
	v_mul_f32_e32 v33, v98, v36
	v_mul_f32_e32 v34, v78, v36
	v_fma_f32 v33, v78, v35, -v33
	v_fmac_f32_e32 v34, v98, v35
	s_waitcnt vmcnt(4)
	v_mul_f32_e32 v35, v103, v38
	v_mul_f32_e32 v36, v83, v38
	v_fma_f32 v35, v83, v37, -v35
	v_fmac_f32_e32 v36, v103, v37
	v_mul_f32_e32 v37, v100, v40
	v_mul_f32_e32 v38, v80, v40
	;; [unrolled: 9-line block ×3, first 2 shown]
	v_fma_f32 v41, v85, v43, -v41
	v_fmac_f32_e32 v42, v105, v43
	s_waitcnt vmcnt(2)
	v_mul_f32_e32 v43, v104, v61
	v_mul_f32_e32 v44, v84, v61
	s_waitcnt vmcnt(1)
	v_mul_f32_e32 v61, v91, v65
	v_fma_f32 v43, v84, v60, -v43
	v_fmac_f32_e32 v44, v104, v60
	v_mul_f32_e32 v58, v107, v63
	v_mul_f32_e32 v60, v87, v63
	v_fma_f32 v61, v45, v64, -v61
	v_mul_f32_e32 v45, v45, v65
	v_fma_f32 v58, v87, v62, -v58
	v_fmac_f32_e32 v60, v107, v62
	v_fmac_f32_e32 v45, v91, v64
	v_mul_f32_e32 v62, v106, v67
	v_mul_f32_e32 v63, v86, v67
	s_waitcnt vmcnt(0)
	v_mul_f32_e32 v64, v95, v69
	v_mul_f32_e32 v65, v75, v69
	v_add_f32_e32 v69, v48, v72
	v_fma_f32 v62, v86, v66, -v62
	v_fmac_f32_e32 v63, v106, v66
	v_mul_f32_e32 v66, v108, v71
	v_mul_f32_e32 v67, v88, v71
	v_fma_f32 v69, -0.5, v69, v7
	v_fma_f32 v66, v88, v70, -v66
	v_fmac_f32_e32 v67, v108, v70
	v_sub_f32_e32 v70, v21, v76
	v_mov_b32_e32 v71, v69
	v_fma_f32 v64, v75, v68, -v64
	v_fmac_f32_e32 v71, 0x3f737871, v70
	v_sub_f32_e32 v75, v46, v57
	v_sub_f32_e32 v77, v23, v48
	;; [unrolled: 1-line block ×3, first 2 shown]
	v_fmac_f32_e32 v69, 0xbf737871, v70
	v_fmac_f32_e32 v71, 0x3f167918, v75
	v_add_f32_e32 v77, v77, v78
	v_fmac_f32_e32 v69, 0xbf167918, v75
	v_fmac_f32_e32 v71, 0x3e9e377a, v77
	;; [unrolled: 1-line block ×3, first 2 shown]
	v_add_f32_e32 v77, v23, v89
	v_fmac_f32_e32 v65, v95, v68
	v_add_f32_e32 v68, v7, v23
	v_fma_f32 v7, -0.5, v77, v7
	v_mov_b32_e32 v77, v7
	v_fmac_f32_e32 v77, 0xbf737871, v75
	v_sub_f32_e32 v78, v48, v23
	v_sub_f32_e32 v79, v72, v89
	v_fmac_f32_e32 v7, 0x3f737871, v75
	v_add_f32_e32 v75, v46, v57
	v_fmac_f32_e32 v77, 0x3f167918, v70
	v_add_f32_e32 v78, v78, v79
	v_fmac_f32_e32 v7, 0xbf167918, v70
	v_fma_f32 v75, -0.5, v75, v13
	v_add_f32_e32 v68, v68, v48
	v_fmac_f32_e32 v77, 0x3e9e377a, v78
	v_fmac_f32_e32 v7, 0x3e9e377a, v78
	v_sub_f32_e32 v23, v23, v89
	v_mov_b32_e32 v78, v75
	v_add_f32_e32 v68, v68, v72
	v_fmac_f32_e32 v78, 0xbf737871, v23
	v_sub_f32_e32 v48, v48, v72
	v_sub_f32_e32 v72, v21, v46
	;; [unrolled: 1-line block ×3, first 2 shown]
	v_fmac_f32_e32 v75, 0x3f737871, v23
	v_fmac_f32_e32 v78, 0xbf167918, v48
	v_add_f32_e32 v72, v72, v79
	v_fmac_f32_e32 v75, 0x3f167918, v48
	v_fmac_f32_e32 v78, 0x3e9e377a, v72
	;; [unrolled: 1-line block ×3, first 2 shown]
	v_add_f32_e32 v72, v21, v76
	v_add_f32_e32 v70, v13, v21
	v_fma_f32 v13, -0.5, v72, v13
	v_mov_b32_e32 v72, v13
	v_fmac_f32_e32 v72, 0x3f737871, v48
	v_fmac_f32_e32 v13, 0xbf737871, v48
	;; [unrolled: 1-line block ×4, first 2 shown]
	v_add_f32_e32 v23, v25, v27
	v_add_f32_e32 v70, v70, v46
	v_sub_f32_e32 v21, v46, v21
	v_sub_f32_e32 v46, v57, v76
	v_fma_f32 v23, -0.5, v23, v17
	v_add_f32_e32 v70, v70, v57
	v_add_f32_e32 v21, v21, v46
	v_sub_f32_e32 v46, v22, v30
	v_mov_b32_e32 v48, v23
	v_add_f32_e32 v70, v70, v76
	v_fmac_f32_e32 v48, 0x3f737871, v46
	v_sub_f32_e32 v57, v26, v28
	v_sub_f32_e32 v76, v92, v25
	v_sub_f32_e32 v79, v29, v27
	v_fmac_f32_e32 v23, 0xbf737871, v46
	v_fmac_f32_e32 v48, 0x3f167918, v57
	v_add_f32_e32 v76, v76, v79
	v_fmac_f32_e32 v23, 0xbf167918, v57
	v_fmac_f32_e32 v48, 0x3e9e377a, v76
	;; [unrolled: 1-line block ×3, first 2 shown]
	v_add_f32_e32 v76, v92, v29
	v_fmac_f32_e32 v72, 0x3e9e377a, v21
	v_fmac_f32_e32 v13, 0x3e9e377a, v21
	v_add_f32_e32 v21, v17, v92
	v_fmac_f32_e32 v17, -0.5, v76
	v_mov_b32_e32 v76, v17
	v_add_f32_e32 v21, v21, v25
	v_fmac_f32_e32 v76, 0xbf737871, v57
	v_sub_f32_e32 v79, v25, v92
	v_sub_f32_e32 v80, v27, v29
	v_fmac_f32_e32 v17, 0x3f737871, v57
	v_add_f32_e32 v57, v26, v28
	v_add_f32_e32 v21, v21, v27
	v_fmac_f32_e32 v76, 0x3f167918, v46
	v_add_f32_e32 v79, v79, v80
	v_fmac_f32_e32 v17, 0xbf167918, v46
	v_fma_f32 v57, -0.5, v57, v19
	v_add_f32_e32 v21, v21, v29
	v_fmac_f32_e32 v76, 0x3e9e377a, v79
	v_fmac_f32_e32 v17, 0x3e9e377a, v79
	v_sub_f32_e32 v29, v92, v29
	v_mov_b32_e32 v79, v57
	v_fmac_f32_e32 v79, 0xbf737871, v29
	v_sub_f32_e32 v25, v25, v27
	v_sub_f32_e32 v27, v22, v26
	;; [unrolled: 1-line block ×3, first 2 shown]
	v_fmac_f32_e32 v57, 0x3f737871, v29
	v_fmac_f32_e32 v79, 0xbf167918, v25
	v_add_f32_e32 v27, v27, v80
	v_fmac_f32_e32 v57, 0x3f167918, v25
	v_fmac_f32_e32 v79, 0x3e9e377a, v27
	;; [unrolled: 1-line block ×3, first 2 shown]
	v_add_f32_e32 v27, v22, v30
	v_add_f32_e32 v46, v19, v22
	v_fmac_f32_e32 v19, -0.5, v27
	v_mov_b32_e32 v80, v19
	v_fmac_f32_e32 v80, 0x3f737871, v25
	v_fmac_f32_e32 v19, 0xbf737871, v25
	v_add_f32_e32 v25, v33, v35
	v_add_f32_e32 v46, v46, v26
	v_sub_f32_e32 v22, v26, v22
	v_sub_f32_e32 v26, v28, v30
	v_fma_f32 v25, -0.5, v25, v8
	v_add_f32_e32 v46, v46, v28
	v_add_f32_e32 v22, v22, v26
	v_sub_f32_e32 v26, v32, v38
	v_mov_b32_e32 v27, v25
	v_add_f32_e32 v46, v46, v30
	v_fmac_f32_e32 v80, 0xbf167918, v29
	v_fmac_f32_e32 v19, 0x3f167918, v29
	;; [unrolled: 1-line block ×3, first 2 shown]
	v_sub_f32_e32 v28, v34, v36
	v_sub_f32_e32 v29, v31, v33
	;; [unrolled: 1-line block ×3, first 2 shown]
	v_fmac_f32_e32 v25, 0xbf737871, v26
	v_fmac_f32_e32 v27, 0x3f167918, v28
	v_add_f32_e32 v29, v29, v30
	v_fmac_f32_e32 v25, 0xbf167918, v28
	v_fmac_f32_e32 v27, 0x3e9e377a, v29
	;; [unrolled: 1-line block ×3, first 2 shown]
	v_add_f32_e32 v29, v31, v37
	v_fmac_f32_e32 v80, 0x3e9e377a, v22
	v_fmac_f32_e32 v19, 0x3e9e377a, v22
	v_add_f32_e32 v22, v8, v31
	v_fmac_f32_e32 v8, -0.5, v29
	v_mov_b32_e32 v29, v8
	v_fmac_f32_e32 v29, 0xbf737871, v28
	v_fmac_f32_e32 v8, 0x3f737871, v28
	;; [unrolled: 1-line block ×4, first 2 shown]
	v_add_f32_e32 v26, v14, v32
	v_add_f32_e32 v26, v26, v34
	v_sub_f32_e32 v30, v33, v31
	v_sub_f32_e32 v81, v35, v37
	v_add_f32_e32 v26, v26, v36
	v_add_f32_e32 v30, v30, v81
	;; [unrolled: 1-line block ×4, first 2 shown]
	v_fma_f32 v82, -0.5, v26, v14
	v_sub_f32_e32 v26, v31, v37
	v_mov_b32_e32 v31, v82
	v_add_f32_e32 v22, v22, v33
	v_fmac_f32_e32 v29, 0x3e9e377a, v30
	v_fmac_f32_e32 v8, 0x3e9e377a, v30
	;; [unrolled: 1-line block ×3, first 2 shown]
	v_sub_f32_e32 v28, v33, v35
	v_sub_f32_e32 v30, v32, v34
	v_sub_f32_e32 v33, v38, v36
	v_fmac_f32_e32 v82, 0x3f737871, v26
	v_fmac_f32_e32 v31, 0xbf167918, v28
	v_add_f32_e32 v30, v30, v33
	v_fmac_f32_e32 v82, 0x3f167918, v28
	v_fmac_f32_e32 v31, 0x3e9e377a, v30
	;; [unrolled: 1-line block ×3, first 2 shown]
	v_add_f32_e32 v30, v32, v38
	v_fmac_f32_e32 v14, -0.5, v30
	v_add_f32_e32 v22, v22, v35
	v_mov_b32_e32 v35, v14
	v_fmac_f32_e32 v35, 0x3f737871, v28
	v_sub_f32_e32 v30, v34, v32
	v_sub_f32_e32 v32, v36, v38
	v_fmac_f32_e32 v14, 0xbf737871, v28
	v_add_f32_e32 v28, v41, v43
	v_fmac_f32_e32 v35, 0xbf167918, v26
	v_add_f32_e32 v30, v30, v32
	v_fmac_f32_e32 v14, 0x3f167918, v26
	v_fma_f32 v28, -0.5, v28, v11
	v_fmac_f32_e32 v35, 0x3e9e377a, v30
	v_fmac_f32_e32 v14, 0x3e9e377a, v30
	v_sub_f32_e32 v30, v40, v60
	v_mov_b32_e32 v32, v28
	v_fmac_f32_e32 v32, 0x3f737871, v30
	v_sub_f32_e32 v33, v42, v44
	v_sub_f32_e32 v34, v39, v41
	;; [unrolled: 1-line block ×3, first 2 shown]
	v_fmac_f32_e32 v28, 0xbf737871, v30
	v_fmac_f32_e32 v32, 0x3f167918, v33
	v_add_f32_e32 v34, v34, v36
	v_fmac_f32_e32 v28, 0xbf167918, v33
	v_fmac_f32_e32 v32, 0x3e9e377a, v34
	;; [unrolled: 1-line block ×3, first 2 shown]
	v_add_f32_e32 v34, v39, v58
	v_add_f32_e32 v26, v11, v39
	v_fma_f32 v11, -0.5, v34, v11
	v_mov_b32_e32 v34, v11
	v_fmac_f32_e32 v34, 0xbf737871, v33
	v_fmac_f32_e32 v11, 0x3f737871, v33
	;; [unrolled: 1-line block ×4, first 2 shown]
	v_add_f32_e32 v30, v15, v40
	v_add_f32_e32 v30, v30, v42
	;; [unrolled: 1-line block ×8, first 2 shown]
	v_sub_f32_e32 v36, v41, v39
	v_sub_f32_e32 v37, v43, v58
	v_fma_f32 v84, -0.5, v30, v15
	v_add_f32_e32 v26, v26, v58
	v_add_f32_e32 v36, v36, v37
	v_sub_f32_e32 v30, v39, v58
	v_mov_b32_e32 v58, v84
	v_fmac_f32_e32 v34, 0x3e9e377a, v36
	v_fmac_f32_e32 v11, 0x3e9e377a, v36
	;; [unrolled: 1-line block ×3, first 2 shown]
	v_sub_f32_e32 v33, v41, v43
	v_sub_f32_e32 v36, v40, v42
	;; [unrolled: 1-line block ×3, first 2 shown]
	v_fmac_f32_e32 v84, 0x3f737871, v30
	v_fmac_f32_e32 v58, 0xbf167918, v33
	v_add_f32_e32 v36, v36, v37
	v_fmac_f32_e32 v84, 0x3f167918, v33
	v_fmac_f32_e32 v58, 0x3e9e377a, v36
	;; [unrolled: 1-line block ×3, first 2 shown]
	v_add_f32_e32 v36, v40, v60
	v_fma_f32 v15, -0.5, v36, v15
	v_mov_b32_e32 v85, v15
	v_fmac_f32_e32 v85, 0x3f737871, v33
	v_sub_f32_e32 v36, v42, v40
	v_sub_f32_e32 v37, v44, v60
	v_fmac_f32_e32 v15, 0xbf737871, v33
	v_add_f32_e32 v33, v62, v64
	v_fmac_f32_e32 v85, 0xbf167918, v30
	v_add_f32_e32 v36, v36, v37
	v_fmac_f32_e32 v15, 0x3f167918, v30
	v_fma_f32 v33, -0.5, v33, v12
	v_fmac_f32_e32 v85, 0x3e9e377a, v36
	v_fmac_f32_e32 v15, 0x3e9e377a, v36
	v_sub_f32_e32 v36, v45, v67
	v_mov_b32_e32 v37, v33
	v_fmac_f32_e32 v37, 0x3f737871, v36
	v_sub_f32_e32 v38, v63, v65
	v_sub_f32_e32 v39, v61, v62
	;; [unrolled: 1-line block ×3, first 2 shown]
	v_fmac_f32_e32 v33, 0xbf737871, v36
	v_fmac_f32_e32 v37, 0x3f167918, v38
	v_add_f32_e32 v39, v39, v40
	v_fmac_f32_e32 v33, 0xbf167918, v38
	v_fmac_f32_e32 v37, 0x3e9e377a, v39
	;; [unrolled: 1-line block ×3, first 2 shown]
	v_add_f32_e32 v39, v61, v66
	v_add_f32_e32 v30, v12, v61
	v_fmac_f32_e32 v12, -0.5, v39
	v_mov_b32_e32 v39, v12
	v_fmac_f32_e32 v39, 0xbf737871, v38
	v_fmac_f32_e32 v12, 0x3f737871, v38
	;; [unrolled: 1-line block ×4, first 2 shown]
	v_add_f32_e32 v36, v16, v45
	v_add_f32_e32 v36, v36, v63
	;; [unrolled: 1-line block ×5, first 2 shown]
	v_sub_f32_e32 v40, v62, v61
	v_sub_f32_e32 v41, v64, v66
	v_fma_f32 v86, -0.5, v36, v16
	v_add_f32_e32 v40, v40, v41
	v_sub_f32_e32 v36, v61, v66
	v_mov_b32_e32 v61, v86
	v_fmac_f32_e32 v39, 0x3e9e377a, v40
	v_fmac_f32_e32 v12, 0x3e9e377a, v40
	;; [unrolled: 1-line block ×3, first 2 shown]
	v_sub_f32_e32 v38, v62, v64
	v_sub_f32_e32 v40, v45, v63
	;; [unrolled: 1-line block ×3, first 2 shown]
	v_fmac_f32_e32 v86, 0x3f737871, v36
	v_fmac_f32_e32 v61, 0xbf167918, v38
	v_add_f32_e32 v40, v40, v41
	v_fmac_f32_e32 v86, 0x3f167918, v38
	v_fmac_f32_e32 v61, 0x3e9e377a, v40
	v_fmac_f32_e32 v86, 0x3e9e377a, v40
	v_add_f32_e32 v40, v45, v67
	v_add_f32_e32 v68, v68, v89
	v_fmac_f32_e32 v16, -0.5, v40
	v_sub_f32_e32 v40, v63, v45
	v_add_u32_e32 v63, 0x200, v0
	v_add_f32_e32 v30, v30, v62
	v_mov_b32_e32 v62, v16
	ds_write2_b32 v0, v68, v71 offset1:55
	ds_write2_b32 v0, v77, v7 offset0:110 offset1:165
	ds_write2_b32 v63, v69, v21 offset0:92 offset1:147
	;; [unrolled: 1-line block ×4, first 2 shown]
	v_add_u32_e32 v17, 0x800, v9
	v_add_u32_e32 v48, 0xc00, v18
	v_add_f32_e32 v30, v30, v64
	v_fmac_f32_e32 v62, 0x3f737871, v38
	v_sub_f32_e32 v41, v65, v67
	v_fmac_f32_e32 v16, 0xbf737871, v38
	ds_write2_b32 v17, v22, v27 offset0:38 offset1:93
	ds_write2_b32 v17, v29, v8 offset0:148 offset1:203
	ds_write_b32 v9, v25 offset:3080
	ds_write2_b32 v48, v26, v32 offset0:57 offset1:112
	ds_write2_b32 v48, v34, v11 offset0:167 offset1:222
	ds_write_b32 v18, v28 offset:4180
	v_lshl_add_u32 v11, v20, 2, 0
	v_add_f32_e32 v30, v30, v66
	v_fmac_f32_e32 v62, 0xbf167918, v36
	v_add_f32_e32 v40, v40, v41
	v_fmac_f32_e32 v16, 0x3f167918, v36
	v_add_u32_e32 v20, 0x1000, v11
	v_fmac_f32_e32 v62, 0x3e9e377a, v40
	v_fmac_f32_e32 v16, 0x3e9e377a, v40
	ds_write2_b32 v20, v30, v37 offset0:76 offset1:131
	ds_write2_b32 v20, v39, v12 offset0:186 offset1:241
	ds_write_b32 v11, v33 offset:5280
	s_waitcnt lgkmcnt(0)
	; wave barrier
	s_waitcnt lgkmcnt(0)
	ds_read2_b32 v[25:26], v0 offset1:110
	ds_read2_b32 v[33:34], v49 offset0:19 offset1:74
	ds_read2_b32 v[40:41], v53 offset0:111 offset1:166
	;; [unrolled: 1-line block ×4, first 2 shown]
	ds_read_b32 v21, v56
	ds_read2_b32 v[44:45], v54 offset0:93 offset1:148
	ds_read2_b32 v[42:43], v51 offset0:131 offset1:186
	;; [unrolled: 1-line block ×7, first 2 shown]
	s_waitcnt lgkmcnt(0)
	; wave barrier
	s_waitcnt lgkmcnt(0)
	ds_write2_b32 v0, v70, v78 offset1:55
	ds_write2_b32 v0, v72, v13 offset0:110 offset1:165
	ds_write2_b32 v63, v75, v46 offset0:92 offset1:147
	;; [unrolled: 1-line block ×6, first 2 shown]
	ds_write_b32 v9, v82 offset:3080
	ds_write2_b32 v48, v83, v58 offset0:57 offset1:112
	ds_write2_b32 v48, v85, v15 offset0:167 offset1:222
	ds_write_b32 v18, v84 offset:4180
	ds_write2_b32 v20, v60, v61 offset0:76 offset1:131
	ds_write2_b32 v20, v62, v16 offset0:186 offset1:241
	ds_write_b32 v11, v86 offset:5280
	s_waitcnt lgkmcnt(0)
	; wave barrier
	s_waitcnt lgkmcnt(0)
	s_and_saveexec_b64 s[0:1], vcc
	s_cbranch_execz .LBB0_21
; %bb.20:
	v_lshlrev_b32_e32 v9, 2, v47
	v_lshlrev_b64 v[11:12], 3, v[9:10]
	v_mov_b32_e32 v53, s13
	v_add_co_u32_e32 v19, vcc, s12, v11
	v_addc_co_u32_e32 v20, vcc, v53, v12, vcc
	global_load_dwordx4 v[11:14], v[19:20], off offset:2112
	global_load_dwordx4 v[15:18], v[19:20], off offset:2128
	v_add_u32_e32 v9, 0x600, v0
	v_mul_lo_u32 v35, s5, v3
	v_mul_lo_u32 v57, s4, v4
	v_mad_u64_u32 v[31:32], s[0:1], s4, v3, 0
	v_add_u32_e32 v19, 0xa00, v0
	v_add_u32_e32 v20, 0x1200, v0
	;; [unrolled: 1-line block ×3, first 2 shown]
	ds_read2_b32 v[3:4], v0 offset0:165 offset1:220
	ds_read2_b32 v[48:49], v9 offset0:111 offset1:166
	;; [unrolled: 1-line block ×5, first 2 shown]
	v_lshlrev_b32_e32 v9, 2, v24
	v_lshlrev_b64 v[19:20], 3, v[9:10]
	v_add3_u32 v32, v32, v57, v35
	v_add_co_u32_e32 v19, vcc, s12, v19
	v_addc_co_u32_e32 v20, vcc, v53, v20, vcc
	global_load_dwordx4 v[57:60], v[19:20], off offset:2128
	global_load_dwordx4 v[61:64], v[19:20], off offset:2112
	s_mov_b32 s0, 0xdca01dcb
	v_lshlrev_b64 v[31:32], 3, v[31:32]
	s_movk_i32 s1, 0x55f
	s_waitcnt vmcnt(3)
	v_mul_f32_e32 v9, v40, v12
	v_mul_f32_e32 v19, v28, v14
	s_waitcnt vmcnt(2)
	v_mul_f32_e32 v20, v30, v18
	v_mul_f32_e32 v24, v36, v16
	s_waitcnt lgkmcnt(2)
	v_mul_f32_e32 v14, v55, v14
	s_waitcnt lgkmcnt(0)
	v_mul_f32_e32 v16, v46, v16
	v_fmac_f32_e32 v9, v48, v11
	v_fmac_f32_e32 v19, v55, v13
	;; [unrolled: 1-line block ×4, first 2 shown]
	v_fma_f32 v28, v28, v13, -v14
	v_fma_f32 v35, v36, v15, -v16
	v_mul_f32_e32 v18, v76, v18
	v_add_f32_e32 v13, v19, v24
	v_add_f32_e32 v16, v28, v35
	;; [unrolled: 1-line block ×3, first 2 shown]
	v_mul_f32_e32 v12, v48, v12
	v_fma_f32 v30, v30, v17, -v18
	v_fma_f32 v18, -0.5, v13, v4
	v_fma_f32 v17, -0.5, v16, v8
	;; [unrolled: 1-line block ×3, first 2 shown]
	v_add_f32_e32 v4, v9, v4
	v_fma_f32 v36, v40, v11, -v12
	v_add_f32_e32 v4, v19, v4
	v_sub_f32_e32 v11, v9, v19
	v_sub_f32_e32 v14, v36, v28
	;; [unrolled: 1-line block ×5, first 2 shown]
	v_add_f32_e32 v70, v36, v30
	v_add_f32_e32 v4, v24, v4
	v_lshlrev_b32_e32 v9, 2, v52
	v_sub_f32_e32 v12, v20, v24
	v_sub_f32_e32 v66, v24, v20
	v_add_f32_e32 v72, v14, v15
	v_fma_f32 v15, -0.5, v70, v8
	v_add_f32_e32 v20, v20, v4
	v_add_f32_e32 v4, v8, v36
	v_lshlrev_b64 v[8:9], 3, v[9:10]
	v_sub_f32_e32 v40, v28, v35
	v_sub_f32_e32 v46, v36, v30
	;; [unrolled: 1-line block ×3, first 2 shown]
	v_add_f32_e32 v71, v11, v12
	v_mov_b32_e32 v12, v18
	v_mov_b32_e32 v11, v17
	;; [unrolled: 1-line block ×4, first 2 shown]
	v_sub_f32_e32 v68, v28, v36
	v_sub_f32_e32 v69, v35, v30
	v_fmac_f32_e32 v16, 0x3f737871, v40
	v_fmac_f32_e32 v15, 0xbf737871, v55
	;; [unrolled: 1-line block ×8, first 2 shown]
	v_add_co_u32_e32 v8, vcc, s12, v8
	v_add_f32_e32 v65, v65, v66
	v_add_f32_e32 v66, v68, v69
	v_fmac_f32_e32 v16, 0xbf167918, v46
	v_fmac_f32_e32 v15, 0x3f167918, v48
	;; [unrolled: 1-line block ×8, first 2 shown]
	v_add_u32_e32 v40, 0x400, v0
	v_addc_co_u32_e32 v9, vcc, v53, v9, vcc
	v_fmac_f32_e32 v16, 0x3e9e377a, v65
	v_fmac_f32_e32 v12, 0x3e9e377a, v71
	v_fmac_f32_e32 v11, 0x3e9e377a, v72
	v_fmac_f32_e32 v14, 0x3e9e377a, v65
	v_fmac_f32_e32 v13, 0x3e9e377a, v66
	v_fmac_f32_e32 v15, 0x3e9e377a, v66
	v_fmac_f32_e32 v18, 0x3e9e377a, v71
	v_fmac_f32_e32 v17, 0x3e9e377a, v72
	ds_read2_b32 v[76:77], v40 offset0:129 offset1:184
	global_load_dwordx4 v[65:68], v[8:9], off offset:2128
	global_load_dwordx4 v[69:72], v[8:9], off offset:2112
	v_add_u32_e32 v48, 0xc00, v0
	ds_read2_b32 v[8:9], v48 offset0:167 offset1:222
	v_add_f32_e32 v4, v4, v28
	v_add_f32_e32 v4, v4, v35
	;; [unrolled: 1-line block ×3, first 2 shown]
	s_waitcnt vmcnt(2)
	v_mul_f32_e32 v4, v23, v62
	v_mul_f32_e32 v28, v27, v64
	;; [unrolled: 1-line block ×4, first 2 shown]
	s_waitcnt lgkmcnt(1)
	v_fmac_f32_e32 v4, v77, v61
	v_fmac_f32_e32 v28, v54, v63
	;; [unrolled: 1-line block ×3, first 2 shown]
	s_waitcnt lgkmcnt(0)
	v_fmac_f32_e32 v52, v9, v57
	v_sub_f32_e32 v24, v4, v28
	v_sub_f32_e32 v30, v46, v52
	v_add_f32_e32 v55, v24, v30
	v_mul_f32_e32 v30, v77, v62
	v_add_f32_e32 v35, v4, v3
	v_fma_f32 v61, v23, v61, -v30
	v_mul_f32_e32 v23, v75, v60
	v_add_f32_e32 v35, v28, v35
	v_fma_f32 v59, v29, v59, -v23
	v_mul_f32_e32 v23, v54, v64
	v_mul_f32_e32 v9, v9, v58
	v_add_f32_e32 v35, v52, v35
	v_fma_f32 v27, v27, v63, -v23
	v_fma_f32 v9, v51, v57, -v9
	v_add_f32_e32 v36, v46, v35
	v_add_f32_e32 v35, v7, v61
	;; [unrolled: 1-line block ×3, first 2 shown]
	v_sub_f32_e32 v23, v61, v27
	v_sub_f32_e32 v29, v59, v9
	;; [unrolled: 1-line block ×4, first 2 shown]
	v_add_f32_e32 v35, v35, v27
	v_sub_f32_e32 v28, v28, v4
	v_add_f32_e32 v4, v4, v46
	v_fma_f32 v24, -0.5, v24, v3
	v_sub_f32_e32 v51, v27, v9
	v_add_f32_e32 v54, v23, v29
	v_add_f32_e32 v23, v27, v9
	;; [unrolled: 1-line block ×3, first 2 shown]
	v_fmac_f32_e32 v3, -0.5, v4
	v_sub_f32_e32 v4, v27, v61
	v_sub_f32_e32 v9, v9, v59
	v_add_f32_e32 v4, v4, v9
	v_add_f32_e32 v9, v61, v59
	v_fma_f32 v23, -0.5, v23, v7
	v_fmac_f32_e32 v7, -0.5, v9
	v_add_u32_e32 v9, 0x800, v0
	ds_read2_b32 v[77:78], v9 offset0:93 offset1:148
	v_lshlrev_b32_e32 v9, 2, v74
	v_lshlrev_b64 v[9:10], 3, v[9:10]
	v_sub_f32_e32 v52, v52, v46
	v_mov_b32_e32 v29, v23
	v_add_f32_e32 v52, v28, v52
	v_mov_b32_e32 v28, v3
	v_mov_b32_e32 v27, v7
	v_add_co_u32_e32 v9, vcc, s12, v9
	v_sub_f32_e32 v60, v61, v59
	v_mov_b32_e32 v30, v24
	v_fmac_f32_e32 v29, 0x3f737871, v57
	v_fmac_f32_e32 v28, 0xbf737871, v51
	;; [unrolled: 1-line block ×6, first 2 shown]
	v_addc_co_u32_e32 v10, vcc, v53, v10, vcc
	v_fmac_f32_e32 v30, 0xbf737871, v60
	v_fmac_f32_e32 v29, 0x3f167918, v58
	v_add_f32_e32 v35, v59, v35
	v_fmac_f32_e32 v28, 0x3f167918, v60
	v_fmac_f32_e32 v3, 0xbf167918, v60
	v_fmac_f32_e32 v24, 0x3f737871, v60
	v_fmac_f32_e32 v27, 0xbf167918, v57
	v_fmac_f32_e32 v7, 0x3f167918, v57
	v_fmac_f32_e32 v23, 0xbf167918, v58
	global_load_dwordx4 v[57:60], v[9:10], off offset:2112
	global_load_dwordx4 v[61:64], v[9:10], off offset:2128
	ds_read2_b32 v[74:75], v79 offset0:131 offset1:186
	v_fmac_f32_e32 v30, 0xbf167918, v51
	v_fmac_f32_e32 v24, 0x3f167918, v51
	;; [unrolled: 1-line block ×8, first 2 shown]
	s_waitcnt vmcnt(2)
	v_mul_f32_e32 v4, v22, v70
	v_mul_f32_e32 v10, v45, v72
	;; [unrolled: 1-line block ×4, first 2 shown]
	v_fmac_f32_e32 v4, v76, v69
	s_waitcnt lgkmcnt(1)
	v_fmac_f32_e32 v10, v78, v71
	s_waitcnt lgkmcnt(0)
	v_fmac_f32_e32 v54, v75, v67
	v_fmac_f32_e32 v55, v8, v65
	v_sub_f32_e32 v9, v4, v10
	v_sub_f32_e32 v46, v54, v55
	v_add_f32_e32 v80, v9, v46
	v_mul_f32_e32 v9, v78, v72
	ds_read2_b32 v[78:79], v0 offset1:110
	v_mul_f32_e32 v8, v8, v66
	v_fma_f32 v65, v50, v65, -v8
	v_mul_f32_e32 v8, v76, v70
	v_mul_f32_e32 v0, v75, v68
	v_fma_f32 v71, v45, v71, -v9
	v_fma_f32 v22, v22, v69, -v8
	;; [unrolled: 1-line block ×3, first 2 shown]
	v_add_f32_e32 v8, v10, v55
	s_waitcnt lgkmcnt(0)
	v_fma_f32 v51, -0.5, v8, v79
	v_sub_f32_e32 v8, v22, v71
	v_sub_f32_e32 v45, v0, v65
	v_add_f32_e32 v67, v8, v45
	v_sub_f32_e32 v45, v10, v4
	v_sub_f32_e32 v46, v55, v54
	v_add_f32_e32 v70, v45, v46
	v_add_f32_e32 v45, v4, v54
	v_fmac_f32_e32 v28, 0x3e9e377a, v52
	v_fmac_f32_e32 v3, 0x3e9e377a, v52
	v_fma_f32 v53, -0.5, v45, v79
	v_sub_f32_e32 v45, v71, v22
	v_sub_f32_e32 v52, v65, v0
	v_add_f32_e32 v8, v71, v65
	v_sub_f32_e32 v68, v4, v54
	v_add_f32_e32 v72, v45, v52
	v_add_f32_e32 v45, v22, v0
	;; [unrolled: 1-line block ×3, first 2 shown]
	v_fma_f32 v50, -0.5, v8, v26
	v_fma_f32 v52, -0.5, v45, v26
	v_add_f32_e32 v4, v10, v4
	v_sub_f32_e32 v66, v71, v65
	v_mov_b32_e32 v8, v50
	v_sub_f32_e32 v69, v10, v55
	v_mov_b32_e32 v46, v53
	v_mov_b32_e32 v45, v52
	v_add_f32_e32 v4, v55, v4
	v_sub_f32_e32 v43, v22, v0
	v_mov_b32_e32 v9, v51
	v_fmac_f32_e32 v8, 0xbf737871, v68
	v_fmac_f32_e32 v46, 0xbf737871, v66
	;; [unrolled: 1-line block ×6, first 2 shown]
	v_add_f32_e32 v55, v54, v4
	v_add_f32_e32 v4, v26, v22
	v_fmac_f32_e32 v9, 0x3f737871, v43
	v_fmac_f32_e32 v8, 0xbf167918, v69
	v_fmac_f32_e32 v46, 0x3f167918, v43
	v_fmac_f32_e32 v45, 0xbf167918, v68
	v_fmac_f32_e32 v53, 0xbf167918, v43
	v_fmac_f32_e32 v52, 0x3f167918, v68
	v_fmac_f32_e32 v51, 0xbf737871, v43
	v_fmac_f32_e32 v50, 0x3f167918, v69
	v_add_f32_e32 v4, v4, v71
	v_fmac_f32_e32 v9, 0x3f167918, v66
	v_fmac_f32_e32 v8, 0x3e9e377a, v67
	;; [unrolled: 1-line block ×8, first 2 shown]
	v_add_f32_e32 v4, v4, v65
	ds_read2_b32 v[75:76], v48 offset0:57 offset1:112
	global_load_dwordx4 v[65:68], v[5:6], off offset:2128
	global_load_dwordx4 v[69:72], v[5:6], off offset:2112
	v_add_f32_e32 v54, v0, v4
	ds_read2_b32 v[4:5], v40 offset0:19 offset1:74
	ds_read_b32 v22, v56
	s_waitcnt vmcnt(3)
	v_mul_f32_e32 v40, v77, v60
	s_waitcnt vmcnt(2)
	v_mul_f32_e32 v0, v42, v64
	v_mul_f32_e32 v10, v39, v62
	;; [unrolled: 1-line block ×4, first 2 shown]
	v_fma_f32 v44, v44, v59, -v40
	s_waitcnt lgkmcnt(2)
	v_mul_f32_e32 v40, v76, v62
	v_fmac_f32_e32 v0, v74, v63
	v_fmac_f32_e32 v10, v76, v61
	;; [unrolled: 1-line block ×3, first 2 shown]
	s_waitcnt lgkmcnt(1)
	v_fmac_f32_e32 v48, v5, v57
	v_fma_f32 v56, v39, v61, -v40
	v_mul_f32_e32 v39, v74, v64
	v_mul_f32_e32 v5, v5, v58
	v_fma_f32 v58, v42, v63, -v39
	v_sub_f32_e32 v39, v26, v48
	v_sub_f32_e32 v40, v10, v0
	v_add_f32_e32 v39, v40, v39
	v_add_f32_e32 v40, v0, v48
	s_waitcnt lgkmcnt(0)
	v_fma_f32 v40, -0.5, v40, v22
	v_fma_f32 v34, v34, v57, -v5
	v_sub_f32_e32 v59, v44, v56
	v_mov_b32_e32 v43, v40
	v_sub_f32_e32 v42, v34, v58
	v_fmac_f32_e32 v43, 0xbf737871, v59
	v_fmac_f32_e32 v40, 0x3f737871, v59
	;; [unrolled: 1-line block ×6, first 2 shown]
	v_sub_f32_e32 v39, v48, v26
	v_sub_f32_e32 v57, v0, v10
	v_add_f32_e32 v39, v57, v39
	v_add_f32_e32 v57, v10, v26
	;; [unrolled: 1-line block ×3, first 2 shown]
	v_fmac_f32_e32 v22, -0.5, v57
	v_mov_b32_e32 v57, v22
	v_fmac_f32_e32 v57, 0x3f737871, v42
	v_fmac_f32_e32 v22, 0xbf737871, v42
	;; [unrolled: 1-line block ×4, first 2 shown]
	v_add_f32_e32 v6, v26, v6
	v_fmac_f32_e32 v57, 0x3e9e377a, v39
	v_fmac_f32_e32 v22, 0x3e9e377a, v39
	v_sub_f32_e32 v39, v44, v34
	v_sub_f32_e32 v42, v56, v58
	v_add_f32_e32 v6, v10, v6
	v_add_f32_e32 v5, v21, v34
	;; [unrolled: 1-line block ×4, first 2 shown]
	v_sub_f32_e32 v10, v26, v10
	v_sub_f32_e32 v26, v34, v44
	;; [unrolled: 1-line block ×3, first 2 shown]
	v_add_f32_e32 v26, v34, v26
	v_add_f32_e32 v34, v56, v44
	;; [unrolled: 1-line block ×3, first 2 shown]
	v_fma_f32 v39, -0.5, v39, v21
	v_fmac_f32_e32 v21, -0.5, v34
	v_add_f32_e32 v6, v0, v6
	v_add_f32_e32 v5, v56, v5
	v_mov_b32_e32 v42, v39
	v_sub_f32_e32 v0, v48, v0
	v_mov_b32_e32 v56, v21
	v_fmac_f32_e32 v42, 0x3f737871, v10
	v_fmac_f32_e32 v39, 0xbf737871, v10
	;; [unrolled: 1-line block ×12, first 2 shown]
	v_add_f32_e32 v5, v58, v5
	s_waitcnt vmcnt(1)
	v_mul_f32_e32 v44, v37, v68
	s_waitcnt vmcnt(0)
	v_mul_f32_e32 v0, v33, v70
	v_mul_f32_e32 v10, v41, v72
	v_mul_f32_e32 v62, v38, v66
	v_fmac_f32_e32 v0, v4, v69
	v_fmac_f32_e32 v10, v49, v71
	;; [unrolled: 1-line block ×4, first 2 shown]
	v_sub_f32_e32 v26, v0, v10
	v_sub_f32_e32 v34, v44, v62
	v_mul_f32_e32 v4, v4, v70
	v_add_f32_e32 v26, v26, v34
	v_mul_f32_e32 v34, v49, v72
	v_fma_f32 v4, v33, v69, -v4
	v_mul_f32_e32 v33, v47, v68
	v_fma_f32 v41, v41, v71, -v34
	;; [unrolled: 2-line block ×3, first 2 shown]
	v_add_f32_e32 v33, v10, v62
	v_fma_f32 v49, v38, v65, -v34
	v_fma_f32 v34, -0.5, v33, v78
	v_sub_f32_e32 v61, v4, v63
	v_mov_b32_e32 v38, v34
	v_sub_f32_e32 v60, v41, v49
	v_fmac_f32_e32 v38, 0x3f737871, v61
	v_fmac_f32_e32 v34, 0xbf737871, v61
	;; [unrolled: 1-line block ×6, first 2 shown]
	v_mul_hi_u32 v26, v73, s0
	v_sub_f32_e32 v47, v10, v0
	v_sub_f32_e32 v48, v62, v44
	;; [unrolled: 1-line block ×3, first 2 shown]
	v_add_f32_e32 v67, v47, v48
	v_add_f32_e32 v47, v0, v44
	;; [unrolled: 1-line block ×3, first 2 shown]
	v_sub_f32_e32 v66, v10, v62
	v_add_f32_e32 v0, v10, v0
	v_sub_u32_e32 v10, v73, v26
	v_lshrrev_b32_e32 v10, 1, v10
	v_add_u32_e32 v10, v10, v26
	v_fma_f32 v48, -0.5, v47, v78
	v_lshrrev_b32_e32 v10, 8, v10
	v_mov_b32_e32 v59, v48
	v_mul_u32_u24_e32 v10, 0x113, v10
	v_fmac_f32_e32 v59, 0xbf737871, v60
	v_fmac_f32_e32 v48, 0x3f737871, v60
	v_sub_u32_e32 v10, v73, v10
	v_fmac_f32_e32 v59, 0x3f167918, v61
	v_fmac_f32_e32 v48, 0xbf167918, v61
	v_mad_u64_u32 v[60:61], s[4:5], s2, v10, 0
	v_sub_f32_e32 v47, v41, v4
	v_sub_f32_e32 v58, v49, v63
	v_add_f32_e32 v0, v62, v0
	v_sub_f32_e32 v33, v4, v41
	v_add_f32_e32 v68, v47, v58
	v_add_f32_e32 v47, v4, v63
	;; [unrolled: 1-line block ×4, first 2 shown]
	v_mov_b32_e32 v0, v61
	v_sub_f32_e32 v37, v63, v49
	v_mad_u64_u32 v[61:62], s[4:5], s3, v10, v[0:1]
	v_add_f32_e32 v0, v4, v41
	v_add_f32_e32 v64, v33, v37
	;; [unrolled: 1-line block ×4, first 2 shown]
	v_fma_f32 v33, -0.5, v33, v25
	v_fma_f32 v47, -0.5, v47, v25
	v_add_f32_e32 v25, v63, v0
	v_mov_b32_e32 v0, s11
	v_add_co_u32_e32 v4, vcc, s10, v31
	v_addc_co_u32_e32 v41, vcc, v0, v32, vcc
	v_lshlrev_b64 v[0:1], 3, v[1:2]
	v_add_u32_e32 v44, 0x113, v10
	v_mad_u64_u32 v[31:32], s[4:5], s2, v44, 0
	v_add_co_u32_e32 v49, vcc, v4, v0
	v_addc_co_u32_e32 v41, vcc, v41, v1, vcc
	v_lshlrev_b64 v[0:1], 3, v[60:61]
	v_mov_b32_e32 v2, v32
	v_add_co_u32_e32 v0, vcc, v49, v0
	v_addc_co_u32_e32 v1, vcc, v41, v1, vcc
	v_add_u32_e32 v4, 0x226, v10
	v_mad_u64_u32 v[60:61], s[4:5], s3, v44, v[2:3]
	global_store_dwordx2 v[0:1], v[25:26], off
	v_mad_u64_u32 v[25:26], s[4:5], s2, v4, 0
	v_mov_b32_e32 v32, v60
	v_lshlrev_b64 v[0:1], 3, v[31:32]
	v_mov_b32_e32 v2, v26
	v_mad_u64_u32 v[31:32], s[4:5], s3, v4, v[2:3]
	v_add_u32_e32 v4, 0x339, v10
	v_mad_u64_u32 v[60:61], s[4:5], s2, v4, 0
	v_mov_b32_e32 v37, v33
	v_fmac_f32_e32 v33, 0x3f737871, v65
	v_fmac_f32_e32 v33, 0x3f167918, v66
	v_add_co_u32_e32 v0, vcc, v49, v0
	v_fmac_f32_e32 v33, 0x3e9e377a, v64
	v_addc_co_u32_e32 v1, vcc, v41, v1, vcc
	v_mov_b32_e32 v26, v31
	v_mov_b32_e32 v2, v61
	global_store_dwordx2 v[0:1], v[33:34], off
	v_lshlrev_b64 v[0:1], 3, v[25:26]
	v_mad_u64_u32 v[25:26], s[4:5], s3, v4, v[2:3]
	v_add_u32_e32 v4, 0x44c, v10
	v_mov_b32_e32 v58, v47
	v_mov_b32_e32 v61, v25
	v_mad_u64_u32 v[25:26], s[4:5], s2, v4, 0
	v_fmac_f32_e32 v47, 0xbf737871, v66
	v_fmac_f32_e32 v47, 0x3f167918, v65
	v_mov_b32_e32 v2, v26
	v_mad_u64_u32 v[31:32], s[4:5], s3, v4, v[2:3]
	v_add_u32_e32 v2, 55, v73
	v_mul_hi_u32 v4, v2, s0
	v_add_co_u32_e32 v0, vcc, v49, v0
	v_fmac_f32_e32 v48, 0x3e9e377a, v67
	v_sub_u32_e32 v10, v2, v4
	v_lshrrev_b32_e32 v10, 1, v10
	v_fmac_f32_e32 v47, 0x3e9e377a, v68
	v_addc_co_u32_e32 v1, vcc, v41, v1, vcc
	v_add_u32_e32 v4, v10, v4
	global_store_dwordx2 v[0:1], v[47:48], off
	v_lshlrev_b64 v[0:1], 3, v[60:61]
	v_lshrrev_b32_e32 v4, 8, v4
	v_fmac_f32_e32 v58, 0x3f737871, v66
	v_mul_u32_u24_e32 v10, 0x113, v4
	v_fmac_f32_e32 v58, 0xbf167918, v65
	v_add_co_u32_e32 v0, vcc, v49, v0
	v_sub_u32_e32 v2, v2, v10
	v_fmac_f32_e32 v59, 0x3e9e377a, v67
	v_fmac_f32_e32 v58, 0x3e9e377a, v68
	v_addc_co_u32_e32 v1, vcc, v41, v1, vcc
	v_mov_b32_e32 v26, v31
	v_mad_u32_u24 v10, v4, s1, v2
	global_store_dwordx2 v[0:1], v[58:59], off
	v_lshlrev_b64 v[0:1], 3, v[25:26]
	v_mad_u64_u32 v[25:26], s[4:5], s2, v10, 0
	v_fmac_f32_e32 v37, 0xbf737871, v65
	v_fmac_f32_e32 v37, 0xbf167918, v66
	v_mov_b32_e32 v2, v26
	v_mad_u64_u32 v[31:32], s[4:5], s3, v10, v[2:3]
	v_add_co_u32_e32 v0, vcc, v49, v0
	v_fmac_f32_e32 v37, 0x3e9e377a, v64
	v_addc_co_u32_e32 v1, vcc, v41, v1, vcc
	v_add_u32_e32 v4, 0x113, v10
	v_mov_b32_e32 v26, v31
	v_mad_u64_u32 v[32:33], s[4:5], s2, v4, 0
	global_store_dwordx2 v[0:1], v[37:38], off
	v_lshlrev_b64 v[0:1], 3, v[25:26]
	v_mov_b32_e32 v2, v33
	v_add_co_u32_e32 v0, vcc, v49, v0
	v_addc_co_u32_e32 v1, vcc, v41, v1, vcc
	global_store_dwordx2 v[0:1], v[5:6], off
	v_add_u32_e32 v6, 0x226, v10
	v_mad_u64_u32 v[25:26], s[4:5], s3, v4, v[2:3]
	v_mad_u64_u32 v[4:5], s[4:5], s2, v6, 0
	v_mov_b32_e32 v33, v25
	v_lshlrev_b64 v[0:1], 3, v[32:33]
	v_mov_b32_e32 v2, v5
	v_mad_u64_u32 v[5:6], s[4:5], s3, v6, v[2:3]
	v_add_u32_e32 v6, 0x339, v10
	v_mad_u64_u32 v[25:26], s[4:5], s2, v6, 0
	v_add_co_u32_e32 v0, vcc, v49, v0
	v_addc_co_u32_e32 v1, vcc, v41, v1, vcc
	v_mov_b32_e32 v2, v26
	global_store_dwordx2 v[0:1], v[21:22], off
	v_lshlrev_b64 v[0:1], 3, v[4:5]
	v_mad_u64_u32 v[4:5], s[4:5], s3, v6, v[2:3]
	v_add_u32_e32 v6, 0x44c, v10
	v_add_co_u32_e32 v0, vcc, v49, v0
	v_mov_b32_e32 v26, v4
	v_mad_u64_u32 v[4:5], s[4:5], s2, v6, 0
	v_addc_co_u32_e32 v1, vcc, v41, v1, vcc
	v_mov_b32_e32 v2, v5
	v_mad_u64_u32 v[5:6], s[4:5], s3, v6, v[2:3]
	v_add_u32_e32 v2, 0x6e, v73
	global_store_dwordx2 v[0:1], v[39:40], off
	v_lshlrev_b64 v[0:1], 3, v[25:26]
	v_mul_hi_u32 v6, v2, s0
	v_add_co_u32_e32 v0, vcc, v49, v0
	v_addc_co_u32_e32 v1, vcc, v41, v1, vcc
	global_store_dwordx2 v[0:1], v[42:43], off
	v_lshlrev_b64 v[0:1], 3, v[4:5]
	v_sub_u32_e32 v4, v2, v6
	v_lshrrev_b32_e32 v4, 1, v4
	v_add_u32_e32 v4, v4, v6
	v_lshrrev_b32_e32 v4, 8, v4
	v_mul_u32_u24_e32 v5, 0x113, v4
	v_sub_u32_e32 v2, v2, v5
	v_mad_u32_u24 v10, v4, s1, v2
	v_mad_u64_u32 v[4:5], s[4:5], s2, v10, 0
	v_add_co_u32_e32 v0, vcc, v49, v0
	v_mov_b32_e32 v2, v5
	v_mad_u64_u32 v[5:6], s[4:5], s3, v10, v[2:3]
	v_add_u32_e32 v6, 0x113, v10
	v_mad_u64_u32 v[21:22], s[4:5], s2, v6, 0
	v_addc_co_u32_e32 v1, vcc, v41, v1, vcc
	v_mov_b32_e32 v2, v22
	global_store_dwordx2 v[0:1], v[56:57], off
	v_lshlrev_b64 v[0:1], 3, v[4:5]
	v_mad_u64_u32 v[4:5], s[4:5], s3, v6, v[2:3]
	v_add_u32_e32 v6, 0x226, v10
	v_add_co_u32_e32 v0, vcc, v49, v0
	v_mov_b32_e32 v22, v4
	v_mad_u64_u32 v[4:5], s[4:5], s2, v6, 0
	v_addc_co_u32_e32 v1, vcc, v41, v1, vcc
	v_mov_b32_e32 v2, v5
	v_mad_u64_u32 v[5:6], s[4:5], s3, v6, v[2:3]
	v_add_u32_e32 v6, 0x339, v10
	global_store_dwordx2 v[0:1], v[54:55], off
	v_lshlrev_b64 v[0:1], 3, v[21:22]
	v_mad_u64_u32 v[21:22], s[4:5], s2, v6, 0
	v_add_co_u32_e32 v0, vcc, v49, v0
	v_fmac_f32_e32 v51, 0x3e9e377a, v80
	v_addc_co_u32_e32 v1, vcc, v41, v1, vcc
	v_mov_b32_e32 v2, v22
	global_store_dwordx2 v[0:1], v[50:51], off
	v_lshlrev_b64 v[0:1], 3, v[4:5]
	v_mad_u64_u32 v[4:5], s[4:5], s3, v6, v[2:3]
	v_add_u32_e32 v6, 0x44c, v10
	v_add_co_u32_e32 v0, vcc, v49, v0
	v_mov_b32_e32 v22, v4
	v_mad_u64_u32 v[4:5], s[4:5], s2, v6, 0
	v_addc_co_u32_e32 v1, vcc, v41, v1, vcc
	v_mov_b32_e32 v2, v5
	v_mad_u64_u32 v[5:6], s[4:5], s3, v6, v[2:3]
	v_add_u32_e32 v2, 0xa5, v73
	global_store_dwordx2 v[0:1], v[52:53], off
	v_lshlrev_b64 v[0:1], 3, v[21:22]
	v_mul_hi_u32 v6, v2, s0
	v_add_co_u32_e32 v0, vcc, v49, v0
	v_addc_co_u32_e32 v1, vcc, v41, v1, vcc
	global_store_dwordx2 v[0:1], v[45:46], off
	v_lshlrev_b64 v[0:1], 3, v[4:5]
	v_sub_u32_e32 v4, v2, v6
	v_lshrrev_b32_e32 v4, 1, v4
	v_add_u32_e32 v4, v4, v6
	v_lshrrev_b32_e32 v4, 8, v4
	v_mul_u32_u24_e32 v5, 0x113, v4
	v_sub_u32_e32 v2, v2, v5
	v_mad_u32_u24 v25, v4, s1, v2
	v_mad_u64_u32 v[4:5], s[4:5], s2, v25, 0
	v_add_co_u32_e32 v0, vcc, v49, v0
	v_mov_b32_e32 v2, v5
	v_mad_u64_u32 v[5:6], s[4:5], s3, v25, v[2:3]
	v_add_u32_e32 v6, 0x113, v25
	v_mad_u64_u32 v[21:22], s[4:5], s2, v6, 0
	v_fmac_f32_e32 v9, 0x3e9e377a, v80
	v_addc_co_u32_e32 v1, vcc, v41, v1, vcc
	v_mov_b32_e32 v2, v22
	global_store_dwordx2 v[0:1], v[8:9], off
	v_lshlrev_b64 v[0:1], 3, v[4:5]
	v_mad_u64_u32 v[4:5], s[4:5], s3, v6, v[2:3]
	v_add_u32_e32 v6, 0x226, v25
	v_add_co_u32_e32 v0, vcc, v49, v0
	v_mov_b32_e32 v22, v4
	v_mad_u64_u32 v[4:5], s[4:5], s2, v6, 0
	v_addc_co_u32_e32 v1, vcc, v41, v1, vcc
	v_mov_b32_e32 v2, v5
	v_mad_u64_u32 v[5:6], s[4:5], s3, v6, v[2:3]
	v_add_u32_e32 v6, 0x339, v25
	v_mad_u64_u32 v[9:10], s[4:5], s2, v6, 0
	global_store_dwordx2 v[0:1], v[35:36], off
	v_lshlrev_b64 v[0:1], 3, v[21:22]
	v_mov_b32_e32 v2, v10
	v_add_co_u32_e32 v0, vcc, v49, v0
	v_addc_co_u32_e32 v1, vcc, v41, v1, vcc
	global_store_dwordx2 v[0:1], v[29:30], off
	v_lshlrev_b64 v[0:1], 3, v[4:5]
	v_mad_u64_u32 v[4:5], s[4:5], s3, v6, v[2:3]
	v_mov_b32_e32 v8, v3
	v_add_u32_e32 v5, 0xdc, v73
	v_mov_b32_e32 v10, v4
	v_add_u32_e32 v4, 0x44c, v25
	v_mad_u64_u32 v[2:3], s[4:5], s2, v4, 0
	v_mul_hi_u32 v6, v5, s0
	v_add_co_u32_e32 v0, vcc, v49, v0
	v_mad_u64_u32 v[3:4], s[4:5], s3, v4, v[3:4]
	v_sub_u32_e32 v4, v5, v6
	v_lshrrev_b32_e32 v4, 1, v4
	v_add_u32_e32 v4, v4, v6
	v_lshrrev_b32_e32 v4, 8, v4
	v_mul_u32_u24_e32 v6, 0x113, v4
	v_sub_u32_e32 v5, v5, v6
	v_addc_co_u32_e32 v1, vcc, v41, v1, vcc
	v_mad_u32_u24 v6, v4, s1, v5
	global_store_dwordx2 v[0:1], v[7:8], off
	v_lshlrev_b64 v[0:1], 3, v[9:10]
	v_mad_u64_u32 v[4:5], s[0:1], s2, v6, 0
	v_add_co_u32_e32 v0, vcc, v49, v0
	v_addc_co_u32_e32 v1, vcc, v41, v1, vcc
	global_store_dwordx2 v[0:1], v[27:28], off
	v_lshlrev_b64 v[0:1], 3, v[2:3]
	v_mov_b32_e32 v2, v5
	v_mad_u64_u32 v[2:3], s[0:1], s3, v6, v[2:3]
	v_add_co_u32_e32 v0, vcc, v49, v0
	v_addc_co_u32_e32 v1, vcc, v41, v1, vcc
	v_mov_b32_e32 v5, v2
	global_store_dwordx2 v[0:1], v[23:24], off
	v_lshlrev_b64 v[0:1], 3, v[4:5]
	v_add_u32_e32 v4, 0x113, v6
	v_mad_u64_u32 v[2:3], s[0:1], s2, v4, 0
	v_add_u32_e32 v7, 0x226, v6
	v_add_co_u32_e32 v0, vcc, v49, v0
	v_mad_u64_u32 v[3:4], s[0:1], s3, v4, v[3:4]
	v_mad_u64_u32 v[4:5], s[0:1], s2, v7, 0
	v_addc_co_u32_e32 v1, vcc, v41, v1, vcc
	global_store_dwordx2 v[0:1], v[19:20], off
	v_lshlrev_b64 v[0:1], 3, v[2:3]
	v_mov_b32_e32 v2, v5
	v_mad_u64_u32 v[2:3], s[0:1], s3, v7, v[2:3]
	v_add_co_u32_e32 v0, vcc, v49, v0
	v_addc_co_u32_e32 v1, vcc, v41, v1, vcc
	v_mov_b32_e32 v5, v2
	global_store_dwordx2 v[0:1], v[17:18], off
	v_lshlrev_b64 v[0:1], 3, v[4:5]
	v_add_u32_e32 v4, 0x339, v6
	v_mad_u64_u32 v[2:3], s[0:1], s2, v4, 0
	v_add_u32_e32 v6, 0x44c, v6
	v_add_co_u32_e32 v0, vcc, v49, v0
	v_mad_u64_u32 v[3:4], s[0:1], s3, v4, v[3:4]
	v_mad_u64_u32 v[4:5], s[0:1], s2, v6, 0
	v_addc_co_u32_e32 v1, vcc, v41, v1, vcc
	global_store_dwordx2 v[0:1], v[15:16], off
	v_lshlrev_b64 v[0:1], 3, v[2:3]
	v_mov_b32_e32 v2, v5
	v_mad_u64_u32 v[2:3], s[0:1], s3, v6, v[2:3]
	v_add_co_u32_e32 v0, vcc, v49, v0
	v_addc_co_u32_e32 v1, vcc, v41, v1, vcc
	v_mov_b32_e32 v5, v2
	global_store_dwordx2 v[0:1], v[13:14], off
	v_lshlrev_b64 v[0:1], 3, v[4:5]
	v_add_co_u32_e32 v0, vcc, v49, v0
	v_addc_co_u32_e32 v1, vcc, v41, v1, vcc
	global_store_dwordx2 v[0:1], v[11:12], off
.LBB0_21:
	s_endpgm
	.section	.rodata,"a",@progbits
	.p2align	6, 0x0
	.amdhsa_kernel fft_rtc_fwd_len1375_factors_11_5_5_5_wgs_55_tpt_55_halfLds_sp_op_CI_CI_sbrr_dirReg
		.amdhsa_group_segment_fixed_size 0
		.amdhsa_private_segment_fixed_size 0
		.amdhsa_kernarg_size 104
		.amdhsa_user_sgpr_count 6
		.amdhsa_user_sgpr_private_segment_buffer 1
		.amdhsa_user_sgpr_dispatch_ptr 0
		.amdhsa_user_sgpr_queue_ptr 0
		.amdhsa_user_sgpr_kernarg_segment_ptr 1
		.amdhsa_user_sgpr_dispatch_id 0
		.amdhsa_user_sgpr_flat_scratch_init 0
		.amdhsa_user_sgpr_private_segment_size 0
		.amdhsa_uses_dynamic_stack 0
		.amdhsa_system_sgpr_private_segment_wavefront_offset 0
		.amdhsa_system_sgpr_workgroup_id_x 1
		.amdhsa_system_sgpr_workgroup_id_y 0
		.amdhsa_system_sgpr_workgroup_id_z 0
		.amdhsa_system_sgpr_workgroup_info 0
		.amdhsa_system_vgpr_workitem_id 0
		.amdhsa_next_free_vgpr 124
		.amdhsa_next_free_sgpr 32
		.amdhsa_reserve_vcc 1
		.amdhsa_reserve_flat_scratch 0
		.amdhsa_float_round_mode_32 0
		.amdhsa_float_round_mode_16_64 0
		.amdhsa_float_denorm_mode_32 3
		.amdhsa_float_denorm_mode_16_64 3
		.amdhsa_dx10_clamp 1
		.amdhsa_ieee_mode 1
		.amdhsa_fp16_overflow 0
		.amdhsa_exception_fp_ieee_invalid_op 0
		.amdhsa_exception_fp_denorm_src 0
		.amdhsa_exception_fp_ieee_div_zero 0
		.amdhsa_exception_fp_ieee_overflow 0
		.amdhsa_exception_fp_ieee_underflow 0
		.amdhsa_exception_fp_ieee_inexact 0
		.amdhsa_exception_int_div_zero 0
	.end_amdhsa_kernel
	.text
.Lfunc_end0:
	.size	fft_rtc_fwd_len1375_factors_11_5_5_5_wgs_55_tpt_55_halfLds_sp_op_CI_CI_sbrr_dirReg, .Lfunc_end0-fft_rtc_fwd_len1375_factors_11_5_5_5_wgs_55_tpt_55_halfLds_sp_op_CI_CI_sbrr_dirReg
                                        ; -- End function
	.section	.AMDGPU.csdata,"",@progbits
; Kernel info:
; codeLenInByte = 20136
; NumSgprs: 36
; NumVgprs: 124
; ScratchSize: 0
; MemoryBound: 0
; FloatMode: 240
; IeeeMode: 1
; LDSByteSize: 0 bytes/workgroup (compile time only)
; SGPRBlocks: 4
; VGPRBlocks: 30
; NumSGPRsForWavesPerEU: 36
; NumVGPRsForWavesPerEU: 124
; Occupancy: 2
; WaveLimiterHint : 1
; COMPUTE_PGM_RSRC2:SCRATCH_EN: 0
; COMPUTE_PGM_RSRC2:USER_SGPR: 6
; COMPUTE_PGM_RSRC2:TRAP_HANDLER: 0
; COMPUTE_PGM_RSRC2:TGID_X_EN: 1
; COMPUTE_PGM_RSRC2:TGID_Y_EN: 0
; COMPUTE_PGM_RSRC2:TGID_Z_EN: 0
; COMPUTE_PGM_RSRC2:TIDIG_COMP_CNT: 0
	.type	__hip_cuid_c1b42bb6e4ebf298,@object ; @__hip_cuid_c1b42bb6e4ebf298
	.section	.bss,"aw",@nobits
	.globl	__hip_cuid_c1b42bb6e4ebf298
__hip_cuid_c1b42bb6e4ebf298:
	.byte	0                               ; 0x0
	.size	__hip_cuid_c1b42bb6e4ebf298, 1

	.ident	"AMD clang version 19.0.0git (https://github.com/RadeonOpenCompute/llvm-project roc-6.4.0 25133 c7fe45cf4b819c5991fe208aaa96edf142730f1d)"
	.section	".note.GNU-stack","",@progbits
	.addrsig
	.addrsig_sym __hip_cuid_c1b42bb6e4ebf298
	.amdgpu_metadata
---
amdhsa.kernels:
  - .args:
      - .actual_access:  read_only
        .address_space:  global
        .offset:         0
        .size:           8
        .value_kind:     global_buffer
      - .offset:         8
        .size:           8
        .value_kind:     by_value
      - .actual_access:  read_only
        .address_space:  global
        .offset:         16
        .size:           8
        .value_kind:     global_buffer
      - .actual_access:  read_only
        .address_space:  global
        .offset:         24
        .size:           8
        .value_kind:     global_buffer
      - .actual_access:  read_only
        .address_space:  global
        .offset:         32
        .size:           8
        .value_kind:     global_buffer
      - .offset:         40
        .size:           8
        .value_kind:     by_value
      - .actual_access:  read_only
        .address_space:  global
        .offset:         48
        .size:           8
        .value_kind:     global_buffer
      - .actual_access:  read_only
        .address_space:  global
        .offset:         56
        .size:           8
        .value_kind:     global_buffer
      - .offset:         64
        .size:           4
        .value_kind:     by_value
      - .actual_access:  read_only
        .address_space:  global
        .offset:         72
        .size:           8
        .value_kind:     global_buffer
      - .actual_access:  read_only
        .address_space:  global
        .offset:         80
        .size:           8
        .value_kind:     global_buffer
      - .actual_access:  read_only
        .address_space:  global
        .offset:         88
        .size:           8
        .value_kind:     global_buffer
      - .actual_access:  write_only
        .address_space:  global
        .offset:         96
        .size:           8
        .value_kind:     global_buffer
    .group_segment_fixed_size: 0
    .kernarg_segment_align: 8
    .kernarg_segment_size: 104
    .language:       OpenCL C
    .language_version:
      - 2
      - 0
    .max_flat_workgroup_size: 55
    .name:           fft_rtc_fwd_len1375_factors_11_5_5_5_wgs_55_tpt_55_halfLds_sp_op_CI_CI_sbrr_dirReg
    .private_segment_fixed_size: 0
    .sgpr_count:     36
    .sgpr_spill_count: 0
    .symbol:         fft_rtc_fwd_len1375_factors_11_5_5_5_wgs_55_tpt_55_halfLds_sp_op_CI_CI_sbrr_dirReg.kd
    .uniform_work_group_size: 1
    .uses_dynamic_stack: false
    .vgpr_count:     124
    .vgpr_spill_count: 0
    .wavefront_size: 64
amdhsa.target:   amdgcn-amd-amdhsa--gfx906
amdhsa.version:
  - 1
  - 2
...

	.end_amdgpu_metadata
